;; amdgpu-corpus repo=ROCm/rocFFT kind=compiled arch=gfx950 opt=O3
	.text
	.amdgcn_target "amdgcn-amd-amdhsa--gfx950"
	.amdhsa_code_object_version 6
	.protected	fft_rtc_back_len476_factors_17_2_7_2_wgs_102_tpt_34_halfLds_sp_op_CI_CI_sbrr_dirReg ; -- Begin function fft_rtc_back_len476_factors_17_2_7_2_wgs_102_tpt_34_halfLds_sp_op_CI_CI_sbrr_dirReg
	.globl	fft_rtc_back_len476_factors_17_2_7_2_wgs_102_tpt_34_halfLds_sp_op_CI_CI_sbrr_dirReg
	.p2align	8
	.type	fft_rtc_back_len476_factors_17_2_7_2_wgs_102_tpt_34_halfLds_sp_op_CI_CI_sbrr_dirReg,@function
fft_rtc_back_len476_factors_17_2_7_2_wgs_102_tpt_34_halfLds_sp_op_CI_CI_sbrr_dirReg: ; @fft_rtc_back_len476_factors_17_2_7_2_wgs_102_tpt_34_halfLds_sp_op_CI_CI_sbrr_dirReg
; %bb.0:
	s_load_dwordx4 s[12:15], s[0:1], 0x18
	s_load_dwordx4 s[8:11], s[0:1], 0x0
	;; [unrolled: 1-line block ×3, first 2 shown]
	v_mul_u32_u24_e32 v1, 0x788, v0
	v_lshrrev_b32_e32 v2, 16, v1
	s_waitcnt lgkmcnt(0)
	s_load_dwordx2 s[18:19], s[12:13], 0x0
	s_load_dwordx2 s[16:17], s[14:15], 0x0
	v_mad_u64_u32 v[10:11], s[2:3], s2, 3, v[2:3]
	v_mov_b32_e32 v6, 0
	v_mov_b32_e32 v11, v6
	v_cmp_lt_u64_e64 s[2:3], s[10:11], 2
	v_mov_b64_e32 v[12:13], 0
	s_and_b64 vcc, exec, s[2:3]
	v_mov_b64_e32 v[2:3], v[12:13]
	v_mov_b64_e32 v[4:5], v[10:11]
	s_cbranch_vccnz .LBB0_8
; %bb.1:
	s_load_dwordx2 s[2:3], s[0:1], 0x10
	s_add_u32 s20, s14, 8
	s_addc_u32 s21, s15, 0
	s_add_u32 s22, s12, 8
	s_addc_u32 s23, s13, 0
	s_waitcnt lgkmcnt(0)
	s_add_u32 s24, s2, 8
	v_mov_b64_e32 v[12:13], 0
	s_addc_u32 s25, s3, 0
	s_mov_b64 s[26:27], 1
	v_mov_b64_e32 v[2:3], v[12:13]
	v_mov_b64_e32 v[8:9], v[10:11]
.LBB0_2:                                ; =>This Inner Loop Header: Depth=1
	s_load_dwordx2 s[28:29], s[24:25], 0x0
                                        ; implicit-def: $vgpr4_vgpr5
	s_waitcnt lgkmcnt(0)
	v_or_b32_e32 v7, s29, v9
	v_cmp_ne_u64_e32 vcc, 0, v[6:7]
	s_and_saveexec_b64 s[2:3], vcc
	s_xor_b64 s[30:31], exec, s[2:3]
	s_cbranch_execz .LBB0_4
; %bb.3:                                ;   in Loop: Header=BB0_2 Depth=1
	v_cvt_f32_u32_e32 v1, s28
	v_cvt_f32_u32_e32 v4, s29
	s_sub_u32 s2, 0, s28
	s_subb_u32 s3, 0, s29
	v_fmac_f32_e32 v1, 0x4f800000, v4
	v_rcp_f32_e32 v1, v1
	s_nop 0
	v_mul_f32_e32 v1, 0x5f7ffffc, v1
	v_mul_f32_e32 v4, 0x2f800000, v1
	v_trunc_f32_e32 v4, v4
	v_fmac_f32_e32 v1, 0xcf800000, v4
	v_cvt_u32_f32_e32 v7, v4
	v_cvt_u32_f32_e32 v1, v1
	v_mul_lo_u32 v4, s2, v7
	v_mul_hi_u32 v11, s2, v1
	v_mul_lo_u32 v5, s3, v1
	v_add_u32_e32 v11, v11, v4
	v_mul_lo_u32 v16, s2, v1
	v_add_u32_e32 v11, v11, v5
	v_mul_hi_u32 v4, v1, v16
	v_mul_hi_u32 v15, v1, v11
	v_mul_lo_u32 v14, v1, v11
	v_mov_b32_e32 v5, v6
	v_lshl_add_u64 v[4:5], v[4:5], 0, v[14:15]
	v_mul_hi_u32 v15, v7, v16
	v_mul_lo_u32 v16, v7, v16
	v_add_co_u32_e32 v4, vcc, v4, v16
	v_mul_hi_u32 v14, v7, v11
	s_nop 0
	v_addc_co_u32_e32 v4, vcc, v5, v15, vcc
	v_mov_b32_e32 v5, v6
	s_nop 0
	v_addc_co_u32_e32 v15, vcc, 0, v14, vcc
	v_mul_lo_u32 v14, v7, v11
	v_lshl_add_u64 v[4:5], v[4:5], 0, v[14:15]
	v_add_co_u32_e32 v1, vcc, v1, v4
	v_mul_lo_u32 v14, s2, v1
	s_nop 0
	v_addc_co_u32_e32 v7, vcc, v7, v5, vcc
	v_mul_lo_u32 v4, s2, v7
	v_mul_hi_u32 v5, s2, v1
	v_add_u32_e32 v4, v5, v4
	v_mul_lo_u32 v5, s3, v1
	v_add_u32_e32 v11, v4, v5
	v_mul_hi_u32 v17, v7, v14
	v_mul_lo_u32 v18, v7, v14
	v_mul_hi_u32 v5, v1, v11
	v_mul_lo_u32 v4, v1, v11
	v_mul_hi_u32 v14, v1, v14
	v_mov_b32_e32 v15, v6
	v_lshl_add_u64 v[4:5], v[14:15], 0, v[4:5]
	v_add_co_u32_e32 v4, vcc, v4, v18
	v_mul_hi_u32 v16, v7, v11
	s_nop 0
	v_addc_co_u32_e32 v4, vcc, v5, v17, vcc
	v_mul_lo_u32 v14, v7, v11
	s_nop 0
	v_addc_co_u32_e32 v15, vcc, 0, v16, vcc
	v_mov_b32_e32 v5, v6
	v_lshl_add_u64 v[4:5], v[4:5], 0, v[14:15]
	v_add_co_u32_e32 v1, vcc, v1, v4
	v_mul_hi_u32 v14, v8, v1
	s_nop 0
	v_addc_co_u32_e32 v7, vcc, v7, v5, vcc
	v_mad_u64_u32 v[4:5], s[2:3], v8, v7, 0
	v_mov_b32_e32 v15, v6
	v_lshl_add_u64 v[4:5], v[14:15], 0, v[4:5]
	v_mad_u64_u32 v[16:17], s[2:3], v9, v1, 0
	v_add_co_u32_e32 v1, vcc, v4, v16
	v_mad_u64_u32 v[14:15], s[2:3], v9, v7, 0
	s_nop 0
	v_addc_co_u32_e32 v4, vcc, v5, v17, vcc
	v_mov_b32_e32 v5, v6
	s_nop 0
	v_addc_co_u32_e32 v15, vcc, 0, v15, vcc
	v_lshl_add_u64 v[4:5], v[4:5], 0, v[14:15]
	v_mul_lo_u32 v1, s29, v4
	v_mul_lo_u32 v7, s28, v5
	v_mad_u64_u32 v[14:15], s[2:3], s28, v4, 0
	v_add3_u32 v1, v15, v7, v1
	v_sub_u32_e32 v7, v9, v1
	v_mov_b32_e32 v11, s29
	v_sub_co_u32_e32 v18, vcc, v8, v14
	v_lshl_add_u64 v[16:17], v[4:5], 0, 1
	s_nop 0
	v_subb_co_u32_e64 v7, s[2:3], v7, v11, vcc
	v_subrev_co_u32_e64 v11, s[2:3], s28, v18
	v_subb_co_u32_e32 v1, vcc, v9, v1, vcc
	s_nop 0
	v_subbrev_co_u32_e64 v7, s[2:3], 0, v7, s[2:3]
	v_cmp_le_u32_e64 s[2:3], s29, v7
	v_cmp_le_u32_e32 vcc, s29, v1
	s_nop 0
	v_cndmask_b32_e64 v14, 0, -1, s[2:3]
	v_cmp_le_u32_e64 s[2:3], s28, v11
	s_nop 1
	v_cndmask_b32_e64 v11, 0, -1, s[2:3]
	v_cmp_eq_u32_e64 s[2:3], s29, v7
	s_nop 1
	v_cndmask_b32_e64 v7, v14, v11, s[2:3]
	v_lshl_add_u64 v[14:15], v[4:5], 0, 2
	v_cmp_ne_u32_e64 s[2:3], 0, v7
	v_cndmask_b32_e64 v11, 0, -1, vcc
	v_cmp_le_u32_e32 vcc, s28, v18
	v_cndmask_b32_e64 v7, v17, v15, s[2:3]
	s_nop 0
	v_cndmask_b32_e64 v15, 0, -1, vcc
	v_cmp_eq_u32_e32 vcc, s29, v1
	s_nop 1
	v_cndmask_b32_e32 v1, v11, v15, vcc
	v_cmp_ne_u32_e32 vcc, 0, v1
	v_cndmask_b32_e64 v1, v16, v14, s[2:3]
	s_nop 0
	v_cndmask_b32_e32 v5, v5, v7, vcc
	v_cndmask_b32_e32 v4, v4, v1, vcc
.LBB0_4:                                ;   in Loop: Header=BB0_2 Depth=1
	s_andn2_saveexec_b64 s[2:3], s[30:31]
	s_cbranch_execz .LBB0_6
; %bb.5:                                ;   in Loop: Header=BB0_2 Depth=1
	v_cvt_f32_u32_e32 v1, s28
	s_sub_i32 s30, 0, s28
	v_rcp_iflag_f32_e32 v1, v1
	s_nop 0
	v_mul_f32_e32 v1, 0x4f7ffffe, v1
	v_cvt_u32_f32_e32 v1, v1
	v_mul_lo_u32 v4, s30, v1
	v_mul_hi_u32 v4, v1, v4
	v_add_u32_e32 v1, v1, v4
	v_mul_hi_u32 v1, v8, v1
	v_mul_lo_u32 v4, v1, s28
	v_sub_u32_e32 v4, v8, v4
	v_add_u32_e32 v5, 1, v1
	v_subrev_u32_e32 v7, s28, v4
	v_cmp_le_u32_e32 vcc, s28, v4
	s_nop 1
	v_cndmask_b32_e32 v4, v4, v7, vcc
	v_cndmask_b32_e32 v1, v1, v5, vcc
	v_add_u32_e32 v5, 1, v1
	v_cmp_le_u32_e32 vcc, s28, v4
	s_nop 1
	v_cndmask_b32_e32 v4, v1, v5, vcc
	v_mov_b32_e32 v5, v6
.LBB0_6:                                ;   in Loop: Header=BB0_2 Depth=1
	s_or_b64 exec, exec, s[2:3]
	v_mad_u64_u32 v[14:15], s[2:3], v4, s28, 0
	s_load_dwordx2 s[2:3], s[22:23], 0x0
	v_mul_lo_u32 v1, v5, s28
	v_mul_lo_u32 v7, v4, s29
	s_load_dwordx2 s[28:29], s[20:21], 0x0
	s_add_u32 s26, s26, 1
	v_add3_u32 v1, v15, v7, v1
	v_sub_co_u32_e32 v7, vcc, v8, v14
	s_addc_u32 s27, s27, 0
	s_nop 0
	v_subb_co_u32_e32 v1, vcc, v9, v1, vcc
	s_add_u32 s20, s20, 8
	s_waitcnt lgkmcnt(0)
	v_mul_lo_u32 v8, s2, v1
	v_mul_lo_u32 v9, s3, v7
	v_mad_u64_u32 v[12:13], s[2:3], s2, v7, v[12:13]
	s_addc_u32 s21, s21, 0
	v_add3_u32 v13, v9, v13, v8
	v_mul_lo_u32 v1, s28, v1
	v_mul_lo_u32 v8, s29, v7
	v_mad_u64_u32 v[2:3], s[2:3], s28, v7, v[2:3]
	s_add_u32 s22, s22, 8
	v_add3_u32 v3, v8, v3, v1
	s_addc_u32 s23, s23, 0
	v_mov_b64_e32 v[8:9], s[10:11]
	s_add_u32 s24, s24, 8
	v_cmp_ge_u64_e32 vcc, s[26:27], v[8:9]
	s_addc_u32 s25, s25, 0
	s_cbranch_vccnz .LBB0_8
; %bb.7:                                ;   in Loop: Header=BB0_2 Depth=1
	v_mov_b64_e32 v[8:9], v[4:5]
	s_branch .LBB0_2
.LBB0_8:
	s_load_dwordx2 s[0:1], s[0:1], 0x28
	s_lshl_b64 s[20:21], s[10:11], 3
	s_mov_b32 s10, 0x7878788
	v_mul_hi_u32 v1, v0, s10
	v_mul_u32_u24_e32 v1, 34, v1
	v_sub_u32_e32 v0, v0, v1
	s_add_u32 s2, s14, s20
	s_waitcnt lgkmcnt(0)
	v_cmp_gt_u64_e32 vcc, s[0:1], v[4:5]
	v_cmp_gt_u32_e64 s[0:1], 28, v0
	s_addc_u32 s3, s15, s21
	s_and_b64 s[14:15], vcc, s[0:1]
	v_mov_b32_e32 v7, 0
	v_mov_b32_e32 v6, 0
                                        ; implicit-def: $vgpr61
                                        ; implicit-def: $vgpr28
                                        ; implicit-def: $vgpr42
                                        ; implicit-def: $vgpr26
                                        ; implicit-def: $vgpr48
                                        ; implicit-def: $vgpr30
                                        ; implicit-def: $vgpr62
                                        ; implicit-def: $vgpr52
                                        ; implicit-def: $vgpr64
                                        ; implicit-def: $vgpr54
                                        ; implicit-def: $vgpr66
                                        ; implicit-def: $vgpr56
                                        ; implicit-def: $vgpr68
                                        ; implicit-def: $vgpr58
                                        ; implicit-def: $vgpr8
                                        ; implicit-def: $vgpr50
	s_and_saveexec_b64 s[10:11], s[14:15]
	s_cbranch_execz .LBB0_10
; %bb.9:
	s_add_u32 s12, s12, s20
	s_addc_u32 s13, s13, s21
	s_load_dwordx2 s[12:13], s[12:13], 0x0
	s_waitcnt lgkmcnt(0)
	v_mul_lo_u32 v1, s13, v4
	v_mul_lo_u32 v8, s12, v5
	v_mad_u64_u32 v[6:7], s[12:13], s12, v4, 0
	v_add3_u32 v7, v7, v8, v1
	v_mad_u64_u32 v[8:9], s[12:13], s18, v0, 0
	v_mov_b32_e32 v14, v9
	v_mad_u64_u32 v[14:15], s[12:13], s19, v0, v[14:15]
	v_lshl_add_u64 v[6:7], v[6:7], 3, s[4:5]
	v_add_u32_e32 v1, 28, v0
	v_mov_b32_e32 v9, v14
	v_lshl_add_u64 v[12:13], v[12:13], 3, v[6:7]
	v_mad_u64_u32 v[6:7], s[4:5], s18, v1, 0
	v_lshl_add_u64 v[14:15], v[8:9], 3, v[12:13]
	v_mov_b32_e32 v8, v7
	v_mad_u64_u32 v[8:9], s[4:5], s19, v1, v[8:9]
	v_mov_b32_e32 v7, v8
	v_add_u32_e32 v1, 56, v0
	v_lshl_add_u64 v[16:17], v[6:7], 3, v[12:13]
	global_load_dwordx2 v[6:7], v[14:15], off
	global_load_dwordx2 v[8:9], v[16:17], off
	v_mad_u64_u32 v[14:15], s[4:5], s18, v1, 0
	v_mov_b32_e32 v16, v15
	v_mad_u64_u32 v[16:17], s[4:5], s19, v1, v[16:17]
	v_add_u32_e32 v1, 0x54, v0
	v_mov_b32_e32 v15, v16
	v_mad_u64_u32 v[16:17], s[4:5], s18, v1, 0
	v_mov_b32_e32 v18, v17
	v_mad_u64_u32 v[18:19], s[4:5], s19, v1, v[18:19]
	v_add_u32_e32 v1, 0x70, v0
	v_mov_b32_e32 v17, v18
	;; [unrolled: 5-line block ×5, first 2 shown]
	v_mad_u64_u32 v[24:25], s[4:5], s18, v1, 0
	v_mov_b32_e32 v26, v25
	v_mad_u64_u32 v[26:27], s[4:5], s19, v1, v[26:27]
	v_or_b32_e32 v1, 0xe0, v0
	v_mov_b32_e32 v25, v26
	v_mad_u64_u32 v[26:27], s[4:5], s18, v1, 0
	v_mov_b32_e32 v28, v27
	v_mad_u64_u32 v[28:29], s[4:5], s19, v1, v[28:29]
	v_mov_b32_e32 v27, v28
	v_add_u32_e32 v1, 0xfc, v0
	v_lshl_add_u64 v[32:33], v[26:27], 3, v[12:13]
	v_mad_u64_u32 v[26:27], s[4:5], s18, v1, 0
	v_mov_b32_e32 v28, v27
	v_mad_u64_u32 v[28:29], s[4:5], s19, v1, v[28:29]
	v_mov_b32_e32 v27, v28
	v_add_u32_e32 v1, 0x118, v0
	v_lshl_add_u64 v[34:35], v[26:27], 3, v[12:13]
	v_mad_u64_u32 v[26:27], s[4:5], s18, v1, 0
	v_mov_b32_e32 v28, v27
	v_mad_u64_u32 v[28:29], s[4:5], s19, v1, v[28:29]
	v_mov_b32_e32 v27, v28
	v_add_u32_e32 v1, 0x134, v0
	v_lshl_add_u64 v[36:37], v[26:27], 3, v[12:13]
	v_mad_u64_u32 v[26:27], s[4:5], s18, v1, 0
	v_mov_b32_e32 v28, v27
	v_mad_u64_u32 v[28:29], s[4:5], s19, v1, v[28:29]
	v_mov_b32_e32 v27, v28
	v_add_u32_e32 v1, 0x150, v0
	v_lshl_add_u64 v[38:39], v[26:27], 3, v[12:13]
	global_load_dwordx2 v[28:29], v[32:33], off
	global_load_dwordx2 v[60:61], v[34:35], off
	;; [unrolled: 1-line block ×4, first 2 shown]
	v_mad_u64_u32 v[32:33], s[4:5], s18, v1, 0
	v_mov_b32_e32 v34, v33
	v_mad_u64_u32 v[34:35], s[4:5], s19, v1, v[34:35]
	v_add_u32_e32 v1, 0x16c, v0
	v_mov_b32_e32 v33, v34
	v_mad_u64_u32 v[34:35], s[4:5], s18, v1, 0
	v_mov_b32_e32 v36, v35
	v_lshl_add_u64 v[18:19], v[18:19], 3, v[12:13]
	v_lshl_add_u64 v[24:25], v[24:25], 3, v[12:13]
	v_mad_u64_u32 v[36:37], s[4:5], s19, v1, v[36:37]
	v_add_u32_e32 v1, 0x188, v0
	v_lshl_add_u64 v[20:21], v[20:21], 3, v[12:13]
	v_lshl_add_u64 v[22:23], v[22:23], 3, v[12:13]
	global_load_dwordx2 v[42:43], v[24:25], off
	global_load_dwordx2 v[48:49], v[22:23], off
	;; [unrolled: 1-line block ×4, first 2 shown]
	v_mad_u64_u32 v[18:19], s[4:5], s18, v1, 0
	v_mov_b32_e32 v20, v19
	v_mad_u64_u32 v[20:21], s[4:5], s19, v1, v[20:21]
	v_add_u32_e32 v1, 0x1a4, v0
	v_mov_b32_e32 v19, v20
	v_mad_u64_u32 v[20:21], s[4:5], s18, v1, 0
	v_mov_b32_e32 v22, v21
	v_mad_u64_u32 v[22:23], s[4:5], s19, v1, v[22:23]
	v_lshl_add_u64 v[14:15], v[14:15], 3, v[12:13]
	v_lshl_add_u64 v[16:17], v[16:17], 3, v[12:13]
	v_mov_b32_e32 v35, v36
	v_mov_b32_e32 v21, v22
	v_or_b32_e32 v1, 0x1c0, v0
	v_lshl_add_u64 v[32:33], v[32:33], 3, v[12:13]
	v_lshl_add_u64 v[34:35], v[34:35], 3, v[12:13]
	;; [unrolled: 1-line block ×4, first 2 shown]
	global_load_dwordx2 v[66:67], v[16:17], off
	global_load_dwordx2 v[68:69], v[14:15], off
	;; [unrolled: 1-line block ×6, first 2 shown]
	v_mad_u64_u32 v[14:15], s[4:5], s18, v1, 0
	v_mov_b32_e32 v16, v15
	v_mad_u64_u32 v[16:17], s[4:5], s19, v1, v[16:17]
	v_mov_b32_e32 v15, v16
	v_lshl_add_u64 v[12:13], v[14:15], 3, v[12:13]
	global_load_dwordx2 v[50:51], v[12:13], off
.LBB0_10:
	s_or_b64 exec, exec, s[10:11]
	s_mov_b32 s4, 0xaaaaaaab
	v_mul_hi_u32 v1, v10, s4
	v_lshrrev_b32_e32 v1, 1, v1
	v_lshl_add_u32 v1, v1, 1, v1
	v_sub_u32_e32 v1, v10, v1
	v_mul_u32_u24_e32 v1, 0x1dc, v1
	s_waitcnt vmcnt(0)
	v_pk_add_f32 v[46:47], v[8:9], v[50:51] neg_lo:[0,1] neg_hi:[0,1]
	v_pk_add_f32 v[12:13], v[68:69], v[58:59]
	v_pk_add_f32 v[44:45], v[68:69], v[58:59] neg_lo:[0,1] neg_hi:[0,1]
	v_pk_add_f32 v[14:15], v[66:67], v[56:57]
	;; [unrolled: 2-line block ×6, first 2 shown]
	v_pk_add_f32 v[32:33], v[42:43], v[26:27] neg_lo:[0,1] neg_hi:[0,1]
	v_lshlrev_b32_e32 v1, 2, v1
	v_pk_add_f32 v[16:17], v[28:29], v[60:61]
	v_pk_add_f32 v[18:19], v[28:29], v[60:61] neg_lo:[0,1] neg_hi:[0,1]
	s_and_saveexec_b64 s[4:5], s[0:1]
	s_cbranch_execz .LBB0_12
; %bb.11:
	v_mov_b32_e32 v72, v45
	v_mov_b32_e32 v73, v12
	s_mov_b32 s11, 0x3f3d2fb0
	s_mov_b32 s10, 0xbf2c7751
	v_pk_mul_f32 v[70:71], v[72:73], s[10:11]
	s_mov_b32 s13, 0x3ee437d1
	v_mov_b32_e32 v75, v70
	v_pk_fma_f32 v[82:83], v[72:73], s[10:11], v[74:75]
	v_mov_b32_e32 v74, v41
	v_mov_b32_e32 v75, v14
	s_mov_b32 s12, 0xbf65296c
	v_pk_mul_f32 v[72:73], v[74:75], s[12:13]
	s_mov_b32 s15, 0xbf59a7d5
	v_mov_b32_e32 v77, v72
	v_pk_fma_f32 v[84:85], v[74:75], s[12:13], v[76:77]
	s_mov_b32 s14, 0xbf06c442
	v_mov_b32_e32 v76, v33
	v_mov_b32_e32 v77, v10
	v_pk_mul_f32 v[74:75], v[76:77], s[14:15]
	s_mov_b32 s22, 0xbe3c28d5
	v_mov_b32_e32 v79, v74
	v_pk_fma_f32 v[86:87], v[76:77], s[14:15], v[78:79]
	v_mov_b32_e32 v78, v19
	v_mov_b32_e32 v79, v16
	s_mov_b32 s23, 0xbf7ba420
	v_pk_mul_f32 v[76:77], v[78:79], s[22:23]
	s_mov_b32 s18, 0xbf4c4adb
	v_mov_b32_e32 v81, v76
	v_pk_fma_f32 v[88:89], v[78:79], s[22:23], v[80:81]
	v_mov_b32_e32 v79, v6
	v_mov_b32_e32 v78, v6
	v_pk_add_f32 v[80:81], v[78:79], v[8:9]
	v_mov_b32_e32 v90, v48
	v_pk_add_f32 v[80:81], v[80:81], v[68:69]
	;; [unrolled: 2-line block ×3, first 2 shown]
	s_mov_b32 s19, 0xbf1a4643
	v_pk_add_f32 v[80:81], v[80:81], v[64:65]
	s_mov_b32 s28, 0x3f65296c
	v_pk_add_f32 v[80:81], v[80:81], v[62:63]
	s_mov_b32 s20, 0xbf763a35
	v_mov_b32_e32 v81, v8
	s_mov_b32 s27, 0x3f763a35
	s_mov_b32 s40, s18
	;; [unrolled: 1-line block ×3, first 2 shown]
	v_pk_add_f32 v[80:81], v[80:81], v[90:91]
	s_mov_b32 s24, 0x3eb8f4ab
	s_mov_b32 s21, 0xbe8c1d8e
	;; [unrolled: 1-line block ×8, first 2 shown]
	v_pk_mul_f32 v[92:93], v[46:47], s[40:41] op_sel:[1,0]
	v_mov_b32_e32 v78, v60
	s_mov_b32 s31, s12
	v_pk_mul_f32 v[90:91], v[18:19], s[24:25] op_sel:[1,0]
	s_mov_b32 s25, s12
	s_mov_b32 s34, s12
	;; [unrolled: 1-line block ×3, first 2 shown]
	v_pk_fma_f32 v[94:95], v[80:81], s[14:15], v[92:93] op_sel:[1,0,0] neg_lo:[0,0,1] neg_hi:[0,0,1]
	v_pk_mul_f32 v[96:97], v[44:45], s[38:39] op_sel:[1,0]
	s_mov_b32 s45, 0xbeb8f4ab
	s_mov_b32 s58, 0xbf7ee86f
	v_pk_add_f32 v[94:95], v[78:79], v[94:95] op_sel:[1,0]
	v_pk_fma_f32 v[98:99], v[12:13], s[12:13], v[96:97] op_sel_hi:[0,1,1] neg_lo:[0,0,1] neg_hi:[0,0,1]
	s_mov_b32 s47, 0x3f6eb680
	s_mov_b32 s59, 0x3dbcf732
	;; [unrolled: 1-line block ×4, first 2 shown]
	v_pk_add_f32 v[94:95], v[94:95], v[98:99]
	s_mov_b32 s38, s47
	s_mov_b32 s39, s59
	v_pk_mul_f32 v[98:99], v[40:41], s[40:41] op_sel:[1,0]
	s_mov_b32 s44, s27
	v_pk_fma_f32 v[100:101], v[14:15], s[38:39], v[98:99] op_sel_hi:[0,1,1] neg_lo:[0,0,1] neg_hi:[0,0,1]
	v_pk_add_f32 v[94:95], v[94:95], v[100:101]
	v_pk_mul_f32 v[100:101], v[34:35], s[44:45] op_sel:[1,0]
	s_mov_b32 s44, 0x3f4c4adb
	s_mov_b32 s43, s44
	;; [unrolled: 1-line block ×4, first 2 shown]
	v_pk_mul_f32 v[102:103], v[38:39], s[42:43] op_sel:[1,0]
	s_mov_b32 s37, 0x3f7ee86f
	v_pk_fma_f32 v[104:105], v[20:21], s[40:41], v[102:103] op_sel_hi:[0,1,1] neg_lo:[0,0,1] neg_hi:[0,0,1]
	v_pk_add_f32 v[94:95], v[94:95], v[104:105]
	v_pk_mul_f32 v[104:105], v[32:33], s[44:45] op_sel:[1,0]
	s_mov_b32 s44, s37
	s_mov_b32 s42, s59
	;; [unrolled: 1-line block ×3, first 2 shown]
	v_pk_mul_f32 v[106:107], v[36:37], s[44:45] op_sel:[1,0]
	s_mov_b32 s48, s10
	v_pk_fma_f32 v[108:109], v[22:23], s[42:43], v[106:107] op_sel_hi:[0,1,1] neg_lo:[0,0,1] neg_hi:[0,0,1]
	s_mov_b32 s49, s22
	v_pk_add_f32 v[94:95], v[108:109], v[94:95]
	s_mov_b32 s44, s11
	s_mov_b32 s45, s23
	v_pk_mul_f32 v[108:109], v[34:35], s[48:49] op_sel:[1,0]
	s_mov_b32 s65, 0x3f2c7751
	v_pk_fma_f32 v[110:111], v[24:25], s[44:45], v[108:109] op_sel_hi:[0,1,1] neg_lo:[0,0,1] neg_hi:[0,0,1]
	s_mov_b32 s57, s23
	s_mov_b32 s54, s23
	;; [unrolled: 1-line block ×7, first 2 shown]
	v_pk_add_f32 v[94:95], v[110:111], v[94:95]
	v_pk_mul_f32 v[110:111], v[32:33], s[22:23] op_sel:[1,0]
	s_mov_b32 s29, s58
	v_pk_fma_f32 v[112:113], v[10:11], s[10:11], v[110:111] op_sel_hi:[0,1,1] neg_lo:[0,0,1] neg_hi:[0,0,1]
	v_pk_add_f32 v[94:95], v[112:113], v[94:95]
	v_pk_mul_f32 v[112:113], v[32:33], s[28:29] op_sel:[1,0]
	s_mov_b32 s29, s20
	s_mov_b32 s48, s13
	;; [unrolled: 1-line block ×3, first 2 shown]
	v_pk_mul_f32 v[114:115], v[18:19], s[28:29] op_sel:[1,0]
	v_mul_u32_u24_e32 v48, 0x44, v0
	v_pk_fma_f32 v[116:117], v[16:17], s[48:49], v[114:115] op_sel_hi:[0,1,1] neg_lo:[0,0,1] neg_hi:[0,0,1]
	v_pk_add_f32 v[94:95], v[116:117], v[94:95]
	v_add3_u32 v60, 0, v48, v1
	s_mov_b32 s64, 0x3f06c442
	s_mov_b32 s62, s58
	;; [unrolled: 1-line block ×3, first 2 shown]
	ds_write2_b32 v60, v95, v94 offset0:10 offset1:11
	s_mov_b32 s60, s22
	s_mov_b32 s61, s64
	;; [unrolled: 1-line block ×4, first 2 shown]
	v_pk_mul_f32 v[94:95], v[46:47], s[62:63] op_sel:[1,0]
	s_mov_b32 s53, s15
	v_pk_fma_f32 v[116:117], v[80:81], s[28:29], v[94:95] op_sel:[1,0,0] neg_lo:[0,0,1] neg_hi:[0,0,1]
	v_pk_mul_f32 v[118:119], v[44:45], s[60:61] op_sel:[1,0]
	v_pk_add_f32 v[116:117], v[78:79], v[116:117] op_sel:[1,0]
	v_pk_fma_f32 v[120:121], v[12:13], s[52:53], v[118:119] op_sel_hi:[0,1,1] neg_lo:[0,0,1] neg_hi:[0,0,1]
	v_pk_add_f32 v[116:117], v[116:117], v[120:121]
	v_pk_mul_f32 v[120:121], v[36:37], s[64:65] op_sel:[1,0]
	s_mov_b32 s64, s27
	s_mov_b32 s60, s21
	;; [unrolled: 1-line block ×3, first 2 shown]
	v_pk_mul_f32 v[122:123], v[40:41], s[64:65] op_sel:[1,0]
	s_mov_b32 s62, s47
	v_pk_fma_f32 v[124:125], v[14:15], s[60:61], v[122:123] op_sel_hi:[0,1,1] neg_lo:[0,0,1] neg_hi:[0,0,1]
	v_pk_add_f32 v[116:117], v[116:117], v[124:125]
	s_mov_b32 s63, s13
	v_pk_mul_f32 v[124:125], v[38:39], s[24:25] op_sel:[1,0]
	s_mov_b32 s35, s22
	v_pk_fma_f32 v[126:127], v[20:21], s[62:63], v[124:125] op_sel_hi:[0,1,1] neg_lo:[0,0,1] neg_hi:[0,0,1]
	v_pk_add_f32 v[116:117], v[116:117], v[126:127]
	s_mov_b32 s50, s13
	;; [unrolled: 5-line block ×3, first 2 shown]
	v_pk_mul_f32 v[128:129], v[34:35], s[36:37] op_sel:[1,0]
	s_mov_b32 s34, s19
	v_pk_fma_f32 v[130:131], v[24:25], s[24:25], v[128:129] op_sel_hi:[0,1,1] neg_lo:[0,0,1] neg_hi:[0,0,1]
	s_mov_b32 s35, s47
	v_pk_add_f32 v[116:117], v[130:131], v[116:117]
	v_pk_fma_f32 v[130:131], v[10:11], s[34:35], v[104:105] op_sel_hi:[0,1,1] neg_lo:[0,0,1] neg_hi:[0,0,1]
	s_mov_b32 s64, s65
	s_mov_b32 s65, s18
	v_pk_add_f32 v[116:117], v[130:131], v[116:117]
	s_mov_b32 s36, s11
	s_mov_b32 s37, s19
	v_pk_mul_f32 v[130:131], v[18:19], s[64:65] op_sel:[1,0]
	s_mov_b32 s66, s58
	v_pk_fma_f32 v[132:133], v[16:17], s[36:37], v[130:131] op_sel_hi:[0,1,1] neg_lo:[0,0,1] neg_hi:[0,0,1]
	v_pk_add_f32 v[116:117], v[132:133], v[116:117]
	ds_write2_b32 v60, v117, v116 offset0:12 offset1:13
	s_mov_b32 s67, s18
	s_mov_b32 s68, s11
	s_mov_b32 s69, s13
	v_pk_mul_f32 v[116:117], v[46:47], s[30:31] op_sel:[1,0]
	s_mov_b32 s64, s59
	s_mov_b32 s65, s19
	v_pk_fma_f32 v[132:133], v[80:81], s[68:69], v[116:117] op_sel:[1,0,0] neg_lo:[0,0,1] neg_hi:[0,0,1]
	v_pk_mul_f32 v[134:135], v[44:45], s[66:67] op_sel:[1,0]
	v_pk_add_f32 v[132:133], v[78:79], v[132:133] op_sel:[1,0]
	v_pk_fma_f32 v[136:137], v[12:13], s[64:65], v[134:135] op_sel_hi:[0,1,1] neg_lo:[0,0,1] neg_hi:[0,0,1]
	s_mov_b32 s31, 0x3e3c28d5
	s_mov_b32 s30, s18
	v_pk_add_f32 v[132:133], v[132:133], v[136:137]
	s_mov_b32 s56, s19
	v_pk_mul_f32 v[136:137], v[40:41], s[30:31] op_sel:[1,0]
	s_mov_b32 s26, s22
	v_pk_fma_f32 v[138:139], v[14:15], s[56:57], v[136:137] op_sel_hi:[0,1,1] neg_lo:[0,0,1] neg_hi:[0,0,1]
	v_pk_add_f32 v[132:133], v[132:133], v[138:139]
	s_mov_b32 s55, s21
	v_pk_mul_f32 v[138:139], v[38:39], s[26:27] op_sel:[1,0]
	s_mov_b32 s22, s15
	v_pk_fma_f32 v[140:141], v[20:21], s[54:55], v[138:139] op_sel_hi:[0,1,1] neg_lo:[0,0,1] neg_hi:[0,0,1]
	s_mov_b32 s23, s11
	v_pk_add_f32 v[132:133], v[132:133], v[140:141]
	v_pk_fma_f32 v[140:141], v[22:23], s[22:23], v[120:121] op_sel_hi:[0,1,1] neg_lo:[0,0,1] neg_hi:[0,0,1]
	s_mov_b32 s46, s21
	v_pk_add_f32 v[132:133], v[140:141], v[132:133]
	v_pk_fma_f32 v[140:141], v[24:25], s[46:47], v[100:101] op_sel_hi:[0,1,1] neg_lo:[0,0,1] neg_hi:[0,0,1]
	s_mov_b32 s26, s13
	s_mov_b32 s27, s59
	v_pk_add_f32 v[132:133], v[140:141], v[132:133]
	v_pk_fma_f32 v[140:141], v[10:11], s[26:27], v[112:113] op_sel_hi:[0,1,1] neg_lo:[0,0,1] neg_hi:[0,0,1]
	s_mov_b32 s30, s47
	s_mov_b32 s31, s15
	v_pk_add_f32 v[132:133], v[140:141], v[132:133]
	v_pk_fma_f32 v[140:141], v[16:17], s[30:31], v[90:91] op_sel_hi:[0,1,1] neg_lo:[0,0,1] neg_hi:[0,0,1]
	v_pk_add_f32 v[132:133], v[140:141], v[132:133]
	ds_write2_b32 v60, v133, v132 offset0:14 offset1:15
	v_mov_b32_e32 v132, v39
	v_mov_b32_e32 v133, v20
	v_pk_mul_f32 v[140:141], v[132:133], s[58:59]
	v_pk_add_f32 v[152:153], v[80:81], v[42:43]
	v_mov_b32_e32 v143, v140
	v_pk_fma_f32 v[132:133], v[132:133], s[58:59], v[142:143]
	v_mov_b32_e32 v142, v37
	v_mov_b32_e32 v143, v22
	v_pk_mul_f32 v[144:145], v[142:143], s[20:21]
	v_mul_f32_e32 v155, 0xbeb8f4ab, v47
	v_mov_b32_e32 v147, v144
	v_pk_fma_f32 v[142:143], v[142:143], s[20:21], v[146:147]
	v_mov_b32_e32 v146, v35
	v_mov_b32_e32 v147, v24
	v_pk_mul_f32 v[148:149], v[146:147], s[18:19]
	v_mov_b32_e32 v154, v28
	v_mov_b32_e32 v151, v148
	v_pk_fma_f32 v[146:147], v[146:147], s[18:19], v[150:151]
	v_mov_b32_e32 v151, 0x3f6eb680
	v_mov_b32_e32 v150, v42
	v_pk_mul_f32 v[150:151], v[80:81], v[150:151]
	v_mov_b32_e32 v82, v26
	v_mov_b32_e32 v153, v151
	v_pk_add_f32 v[152:153], v[152:153], v[154:155]
	v_mov_b32_e32 v84, v30
	v_pk_add_f32 v[152:153], v[152:153], v[78:79]
	;; [unrolled: 2-line block ×7, first 2 shown]
	v_pk_fma_f32 v[84:85], v[80:81], s[68:69], v[116:117] op_sel:[1,0,0]
	v_pk_add_f32 v[82:83], v[86:87], v[82:83]
	v_pk_add_f32 v[84:85], v[78:79], v[84:85] op_sel:[1,0]
	v_pk_add_f32 v[82:83], v[88:89], v[82:83]
	ds_write2_b32 v60, v82, v83 offset1:1
	v_pk_fma_f32 v[82:83], v[12:13], s[64:65], v[134:135] op_sel_hi:[0,1,1]
	v_pk_add_f32 v[82:83], v[84:85], v[82:83]
	v_pk_fma_f32 v[84:85], v[14:15], s[56:57], v[136:137] op_sel_hi:[0,1,1]
	v_pk_add_f32 v[82:83], v[82:83], v[84:85]
	;; [unrolled: 2-line block ×7, first 2 shown]
	v_pk_fma_f32 v[84:85], v[80:81], s[28:29], v[94:95] op_sel:[1,0,0]
	ds_write2_b32 v60, v82, v83 offset0:2 offset1:3
	v_pk_fma_f32 v[82:83], v[12:13], s[52:53], v[118:119] op_sel_hi:[0,1,1]
	v_pk_add_f32 v[84:85], v[78:79], v[84:85] op_sel:[1,0]
	v_mul_f32_e32 v26, 0x3f6eb680, v12
	v_pk_add_f32 v[82:83], v[84:85], v[82:83]
	v_pk_fma_f32 v[84:85], v[14:15], s[60:61], v[122:123] op_sel_hi:[0,1,1]
	v_pk_add_f32 v[82:83], v[82:83], v[84:85]
	v_pk_fma_f32 v[84:85], v[20:21], s[62:63], v[124:125] op_sel_hi:[0,1,1]
	;; [unrolled: 2-line block ×6, first 2 shown]
	v_pk_add_f32 v[82:83], v[84:85], v[82:83]
	v_pk_fma_f32 v[84:85], v[80:81], s[14:15], v[92:93] op_sel:[1,0,0]
	ds_write2_b32 v60, v82, v83 offset0:4 offset1:5
	v_pk_fma_f32 v[82:83], v[12:13], s[12:13], v[96:97] op_sel_hi:[0,1,1]
	v_pk_add_f32 v[84:85], v[78:79], v[84:85] op_sel:[1,0]
	v_mul_f32_e32 v28, 0x3eb8f4ab, v45
	v_pk_add_f32 v[82:83], v[84:85], v[82:83]
	v_pk_fma_f32 v[84:85], v[14:15], s[38:39], v[98:99] op_sel_hi:[0,1,1]
	v_pk_add_f32 v[82:83], v[82:83], v[84:85]
	v_pk_fma_f32 v[84:85], v[20:21], s[40:41], v[102:103] op_sel_hi:[0,1,1]
	;; [unrolled: 2-line block ×6, first 2 shown]
	v_pk_add_f32 v[82:83], v[84:85], v[82:83]
	ds_write2_b32 v60, v82, v83 offset0:6 offset1:7
	v_pk_add_f32 v[82:83], v[26:27], v[28:29]
	v_pk_add_f32 v[84:85], v[26:27], v[28:29] neg_lo:[0,1] neg_hi:[0,1]
	v_mul_f32_e32 v26, 0xbf59a7d5, v14
	v_mul_f32_e32 v28, 0xbf06c442, v41
	v_mov_b32_e32 v83, v84
	v_pk_add_f32 v[84:85], v[26:27], v[28:29]
	v_pk_add_f32 v[86:87], v[26:27], v[28:29] neg_lo:[0,1] neg_hi:[0,1]
	v_mul_f32_e32 v26, 0x3f3d2fb0, v20
	v_mul_f32_e32 v28, 0x3f2c7751, v39
	v_mov_b32_e32 v85, v86
	;; [unrolled: 5-line block ×7, first 2 shown]
	v_pk_add_f32 v[80:81], v[26:27], v[28:29]
	v_pk_add_f32 v[96:97], v[26:27], v[28:29] neg_lo:[0,1] neg_hi:[0,1]
	v_fmac_f32_e32 v151, 0x3eb8f4ab, v47
	v_mov_b32_e32 v81, v96
	v_pk_add_f32 v[78:79], v[78:79], v[80:81] op_sel:[1,0]
	v_sub_f32_e32 v26, v71, v70
	v_add_f32_e32 v6, v6, v151
	v_pk_add_f32 v[78:79], v[78:79], v[82:83]
	v_sub_f32_e32 v28, v73, v72
	v_add_f32_e32 v6, v6, v26
	v_pk_add_f32 v[78:79], v[78:79], v[84:85]
	;; [unrolled: 3-line block ×7, first 2 shown]
	v_add_f32_e32 v6, v52, v6
	ds_write2_b32 v60, v78, v79 offset0:8 offset1:9
	ds_write_b32 v60, v6 offset:64
.LBB0_12:
	s_or_b64 exec, exec, s[4:5]
	v_lshlrev_b32_e32 v6, 2, v0
	v_add_u32_e32 v88, 0, v6
	v_add_u32_e32 v83, v88, v1
	;; [unrolled: 1-line block ×4, first 2 shown]
	s_waitcnt lgkmcnt(0)
	s_barrier
	v_add3_u32 v82, 0, v1, v6
	ds_read2_b32 v[80:81], v85 offset0:110 offset1:144
	ds_read2_b32 v[74:75], v83 offset0:34 offset1:68
	;; [unrolled: 1-line block ×6, first 2 shown]
	ds_read_b32 v86, v82
	ds_read_b32 v87, v83 offset:1768
	s_waitcnt lgkmcnt(0)
	s_barrier
	s_and_saveexec_b64 s[4:5], s[0:1]
	s_cbranch_execz .LBB0_14
; %bb.13:
	v_mov_b32_e32 v6, v61
	v_pk_add_f32 v[60:61], v[6:7], v[8:9]
	s_mov_b32 s12, 0x3f3d2fb0
	v_pk_add_f32 v[60:61], v[60:61], v[68:69]
	s_mov_b32 s13, 0xbf2c7751
	;; [unrolled: 2-line block ×4, first 2 shown]
	v_pk_add_f32 v[60:61], v[60:61], v[62:63]
	v_mov_b32_e32 v62, v13
	v_mov_b32_e32 v63, v44
	v_pk_mul_f32 v[66:67], v[62:63], s[12:13]
	s_mov_b32 s19, 0xbf7ee86f
	v_mov_b32_e32 v69, v66
	v_pk_fma_f32 v[90:91], v[62:63], s[12:13], v[68:69] neg_lo:[1,0,0] neg_hi:[1,0,0]
	v_mov_b32_e32 v62, v15
	v_mov_b32_e32 v63, v40
	v_add_f32_e32 v89, v66, v67
	v_pk_mul_f32 v[66:67], v[62:63], s[0:1]
	s_mov_b32 s18, 0x3dbcf732
	v_mov_b32_e32 v69, v66
	v_pk_fma_f32 v[92:93], v[62:63], s[0:1], v[68:69] neg_lo:[1,0,0] neg_hi:[1,0,0]
	v_mov_b32_e32 v62, v21
	v_mov_b32_e32 v63, v38
	v_add_f32_e32 v106, v66, v67
	v_pk_mul_f32 v[66:67], v[62:63], s[18:19]
	s_mov_b32 s24, 0xbe8c1d8e
	v_mov_b32_e32 v69, v66
	v_pk_fma_f32 v[94:95], v[62:63], s[18:19], v[68:69] neg_lo:[1,0,0] neg_hi:[1,0,0]
	v_mov_b32_e32 v62, v23
	v_mov_b32_e32 v63, v36
	s_mov_b32 s25, 0xbf763a35
	v_add_f32_e32 v107, v66, v67
	v_pk_mul_f32 v[66:67], v[62:63], s[24:25]
	s_mov_b32 s26, 0xbf1a4643
	v_mov_b32_e32 v69, v66
	v_pk_fma_f32 v[96:97], v[62:63], s[24:25], v[68:69] neg_lo:[1,0,0] neg_hi:[1,0,0]
	s_mov_b32 s27, 0xbf4c4adb
	v_mov_b32_e32 v62, v25
	v_mov_b32_e32 v63, v34
	v_add_f32_e32 v108, v66, v67
	v_pk_mul_f32 v[66:67], v[62:63], s[26:27]
	v_mov_b32_e32 v8, v61
	v_mov_b32_e32 v69, v66
	v_mov_b32_e32 v50, v49
	v_pk_fma_f32 v[98:99], v[62:63], s[26:27], v[68:69] neg_lo:[1,0,0] neg_hi:[1,0,0]
	v_pk_add_f32 v[68:69], v[8:9], v[50:51]
	v_mov_b32_e32 v9, 0x3f6eb680
	v_mov_b32_e32 v8, v43
	v_pk_mul_f32 v[104:105], v[68:69], v[8:9]
	v_mul_f32_e32 v65, 0xbeb8f4ab, v46
	v_pk_add_f32 v[102:103], v[68:69], v[8:9]
	v_mov_b32_e32 v64, v29
	v_fmac_f32_e32 v105, 0xbeb8f4ab, v46
	v_pk_add_f32 v[102:103], v[102:103], v[64:65]
	v_pk_fma_f32 v[8:9], v[68:69], v[8:9], v[64:65] neg_lo:[0,0,1] neg_hi:[0,0,1]
	v_mov_b32_e32 v90, v27
	v_add_f32_e32 v27, v7, v105
	v_mov_b32_e32 v103, v9
	v_add_f32_e32 v27, v27, v89
	s_mov_b32 s22, 0xbf59a7d5
	v_pk_add_f32 v[8:9], v[102:103], v[6:7]
	v_add_f32_e32 v27, v27, v106
	s_mov_b32 s10, 0xbf7ba420
	s_mov_b32 s23, 0xbf06c442
	v_add_f32_e32 v109, v66, v67
	v_mov_b32_e32 v66, v11
	v_mov_b32_e32 v67, v32
	v_pk_add_f32 v[8:9], v[8:9], v[90:91]
	v_mov_b32_e32 v92, v31
	v_add_f32_e32 v27, v27, v107
	s_mov_b32 s11, 0xbe3c28d5
	v_pk_mul_f32 v[100:101], v[66:67], s[22:23]
	v_pk_add_f32 v[8:9], v[8:9], v[92:93]
	v_mov_b32_e32 v94, v53
	v_add_f32_e32 v27, v108, v27
	v_mov_b32_e32 v90, v17
	v_mov_b32_e32 v91, v18
	v_mul_f32_e32 v62, 0x3f65296c, v34
	v_mov_b32_e32 v63, v100
	v_pk_add_f32 v[8:9], v[8:9], v[94:95]
	v_mov_b32_e32 v96, v55
	v_add_f32_e32 v27, v109, v27
	v_add_f32_e32 v29, v100, v101
	v_pk_mul_f32 v[92:93], v[90:91], s[10:11]
	v_mul_f32_e32 v26, 0xbe3c28d5, v46
	v_pk_fma_f32 v[66:67], v[66:67], s[22:23], v[62:63] neg_lo:[1,0,0] neg_hi:[1,0,0]
	v_pk_add_f32 v[8:9], v[8:9], v[96:97]
	v_mov_b32_e32 v98, v57
	v_add_f32_e32 v29, v29, v27
	v_mov_b32_e32 v27, v92
	v_pk_add_f32 v[8:9], v[98:99], v[8:9]
	v_mov_b32_e32 v66, v59
	v_pk_fma_f32 v[90:91], v[90:91], s[10:11], v[26:27] neg_lo:[1,0,0] neg_hi:[1,0,0]
	v_pk_add_f32 v[8:9], v[66:67], v[8:9]
	v_mov_b32_e32 v90, v51
	s_mov_b32 s36, s13
	s_mov_b32 s37, s1
	v_pk_add_f32 v[8:9], v[90:91], v[8:9]
	v_pk_mul_f32 v[90:91], v[46:47], s[36:37] op_sel_hi:[0,1]
	s_mov_b32 s36, s19
	s_mov_b32 s37, s27
	;; [unrolled: 1-line block ×4, first 2 shown]
	v_add_f32_e32 v27, v92, v93
	s_mov_b32 s38, s18
	s_mov_b32 s39, s26
	v_pk_mul_f32 v[92:93], v[44:45], s[36:37] op_sel_hi:[0,1]
	s_mov_b32 s37, 0x3e3c28d5
	s_mov_b32 s36, s27
	v_pk_fma_f32 v[112:113], v[68:69], s[46:47], v[90:91] op_sel:[1,0,0] neg_lo:[0,0,1] neg_hi:[0,0,1]
	v_pk_fma_f32 v[94:95], v[12:13], s[38:39], v[92:93] op_sel:[1,0,0] neg_lo:[0,0,1] neg_hi:[0,0,1]
	s_mov_b32 s40, s26
	s_mov_b32 s41, s10
	v_pk_mul_f32 v[96:97], v[40:41], s[36:37] op_sel_hi:[0,1]
	s_mov_b32 s37, 0x3f763a35
	s_mov_b32 s36, s11
	v_pk_add_f32 v[112:113], v[6:7], v[112:113] op_sel:[1,0]
	s_mov_b32 s29, 0x3f2c7751
	v_pk_fma_f32 v[98:99], v[14:15], s[40:41], v[96:97] op_sel:[1,0,0] neg_lo:[0,0,1] neg_hi:[0,0,1]
	s_mov_b32 s42, s10
	s_mov_b32 s43, s24
	v_pk_mul_f32 v[100:101], v[38:39], s[36:37] op_sel_hi:[0,1]
	s_mov_b32 s28, 0x3f06c442
	v_pk_add_f32 v[94:95], v[112:113], v[94:95]
	s_mov_b32 s15, 0xbeb8f4ab
	v_pk_fma_f32 v[102:103], v[20:21], s[42:43], v[100:101] op_sel:[1,0,0] neg_lo:[0,0,1] neg_hi:[0,0,1]
	s_mov_b32 s44, s22
	s_mov_b32 s45, s12
	v_pk_mul_f32 v[104:105], v[36:37], s[28:29] op_sel_hi:[0,1]
	s_mov_b32 s14, s37
	v_pk_add_f32 v[94:95], v[94:95], v[98:99]
	s_mov_b32 s21, 0x3f6eb680
	s_mov_b32 s30, 0x3f65296c
	v_pk_fma_f32 v[106:107], v[22:23], s[44:45], v[104:105] op_sel:[1,0,0] neg_lo:[0,0,1] neg_hi:[0,0,1]
	s_mov_b32 s20, s24
	v_pk_mul_f32 v[108:109], v[34:35], s[14:15] op_sel_hi:[0,1]
	v_pk_add_f32 v[94:95], v[94:95], v[102:103]
	s_mov_b32 s31, s19
	v_pk_fma_f32 v[90:91], v[68:69], s[46:47], v[90:91] op_sel:[1,0,0]
	v_pk_fma_f32 v[110:111], v[24:25], s[20:21], v[108:109] op_sel:[1,0,0] neg_lo:[0,0,1] neg_hi:[0,0,1]
	v_pk_add_f32 v[94:95], v[106:107], v[94:95]
	s_mov_b32 s48, s0
	s_mov_b32 s49, s18
	v_pk_mul_f32 v[98:99], v[32:33], s[30:31] op_sel_hi:[0,1]
	v_pk_fma_f32 v[92:93], v[12:13], s[38:39], v[92:93] op_sel:[1,0,0]
	v_pk_add_f32 v[90:91], v[6:7], v[90:91] op_sel:[1,0]
	s_mov_b32 s34, 0x3eb8f4ab
	v_pk_add_f32 v[94:95], v[110:111], v[94:95]
	v_pk_fma_f32 v[102:103], v[10:11], s[48:49], v[98:99] op_sel:[1,0,0] neg_lo:[0,0,1] neg_hi:[0,0,1]
	s_mov_b32 s35, s23
	v_pk_fma_f32 v[96:97], v[14:15], s[40:41], v[96:97] op_sel:[1,0,0]
	v_pk_add_f32 v[90:91], v[90:91], v[92:93]
	v_pk_add_f32 v[94:95], v[102:103], v[94:95]
	s_mov_b32 s50, s21
	s_mov_b32 s51, s22
	v_pk_mul_f32 v[102:103], v[18:19], s[34:35] op_sel_hi:[0,1]
	v_pk_fma_f32 v[100:101], v[20:21], s[42:43], v[100:101] op_sel:[1,0,0]
	v_pk_add_f32 v[90:91], v[90:91], v[96:97]
	v_pk_fma_f32 v[106:107], v[16:17], s[50:51], v[102:103] op_sel:[1,0,0] neg_lo:[0,0,1] neg_hi:[0,0,1]
	v_pk_fma_f32 v[104:105], v[22:23], s[44:45], v[104:105] op_sel:[1,0,0]
	v_pk_add_f32 v[90:91], v[90:91], v[100:101]
	v_pk_add_f32 v[94:95], v[106:107], v[94:95]
	v_pk_fma_f32 v[106:107], v[24:25], s[20:21], v[108:109] op_sel:[1,0,0]
	v_pk_add_f32 v[90:91], v[104:105], v[90:91]
	v_pk_fma_f32 v[92:93], v[10:11], s[48:49], v[98:99] op_sel:[1,0,0]
	v_pk_add_f32 v[90:91], v[106:107], v[90:91]
	s_mov_b32 s38, s19
	v_pk_add_f32 v[90:91], v[92:93], v[90:91]
	v_pk_fma_f32 v[92:93], v[16:17], s[50:51], v[102:103] op_sel:[1,0,0]
	s_mov_b32 s39, s25
	v_pk_add_f32 v[90:91], v[92:93], v[90:91]
	v_pk_mul_f32 v[92:93], v[46:47], s[38:39] op_sel_hi:[0,1]
	s_mov_b32 s40, s11
	s_mov_b32 s41, s28
	;; [unrolled: 1-line block ×6, first 2 shown]
	v_pk_mul_f32 v[96:97], v[44:45], s[40:41] op_sel_hi:[0,1]
	s_mov_b32 s28, s37
	v_pk_fma_f32 v[116:117], v[68:69], s[48:49], v[92:93] op_sel:[1,0,0] neg_lo:[0,0,1] neg_hi:[0,0,1]
	v_pk_fma_f32 v[98:99], v[12:13], s[38:39], v[96:97] op_sel:[1,0,0] neg_lo:[0,0,1] neg_hi:[0,0,1]
	s_mov_b32 s40, s24
	s_mov_b32 s41, s12
	v_pk_mul_f32 v[100:101], v[40:41], s[28:29] op_sel_hi:[0,1]
	s_mov_b32 s35, s1
	v_pk_add_f32 v[116:117], v[6:7], v[116:117] op_sel:[1,0]
	v_pk_fma_f32 v[102:103], v[14:15], s[40:41], v[100:101] op_sel:[1,0,0] neg_lo:[0,0,1] neg_hi:[0,0,1]
	s_mov_b32 s42, s21
	s_mov_b32 s43, s0
	v_pk_mul_f32 v[104:105], v[38:39], s[34:35] op_sel_hi:[0,1]
	s_mov_b32 s44, s1
	s_mov_b32 s45, s11
	v_pk_add_f32 v[98:99], v[116:117], v[98:99]
	v_pk_fma_f32 v[106:107], v[20:21], s[42:43], v[104:105] op_sel:[1,0,0] neg_lo:[0,0,1] neg_hi:[0,0,1]
	s_mov_b32 s34, s0
	s_mov_b32 s35, s10
	v_pk_mul_f32 v[108:109], v[36:37], s[44:45] op_sel_hi:[0,1]
	s_mov_b32 s47, 0x3f7ee86f
	s_mov_b32 s46, s23
	v_pk_add_f32 v[98:99], v[98:99], v[102:103]
	v_pk_fma_f32 v[110:111], v[22:23], s[34:35], v[108:109] op_sel:[1,0,0] neg_lo:[0,0,1] neg_hi:[0,0,1]
	s_mov_b32 s44, s22
	s_mov_b32 s45, s18
	v_pk_mul_f32 v[112:113], v[34:35], s[46:47] op_sel_hi:[0,1]
	v_pk_add_f32 v[98:99], v[98:99], v[106:107]
	s_mov_b32 s14, 0x3f4c4adb
	v_pk_fma_f32 v[92:93], v[68:69], s[48:49], v[92:93] op_sel:[1,0,0]
	v_pk_fma_f32 v[114:115], v[24:25], s[44:45], v[112:113] op_sel:[1,0,0] neg_lo:[0,0,1] neg_hi:[0,0,1]
	v_pk_add_f32 v[98:99], v[110:111], v[98:99]
	s_mov_b32 s20, s26
	v_pk_mul_f32 v[102:103], v[32:33], s[14:15] op_sel_hi:[0,1]
	v_pk_fma_f32 v[96:97], v[12:13], s[38:39], v[96:97] op_sel:[1,0,0]
	v_pk_add_f32 v[92:93], v[6:7], v[92:93] op_sel:[1,0]
	v_pk_add_f32 v[98:99], v[114:115], v[98:99]
	v_pk_fma_f32 v[106:107], v[10:11], s[20:21], v[102:103] op_sel:[1,0,0] neg_lo:[0,0,1] neg_hi:[0,0,1]
	s_mov_b32 s52, s29
	s_mov_b32 s53, s27
	v_pk_fma_f32 v[100:101], v[14:15], s[40:41], v[100:101] op_sel:[1,0,0]
	v_pk_add_f32 v[92:93], v[92:93], v[96:97]
	v_pk_add_f32 v[98:99], v[106:107], v[98:99]
	s_mov_b32 s50, s12
	s_mov_b32 s51, s26
	v_pk_mul_f32 v[106:107], v[18:19], s[52:53] op_sel_hi:[0,1]
	v_pk_fma_f32 v[104:105], v[20:21], s[42:43], v[104:105] op_sel:[1,0,0]
	v_pk_add_f32 v[92:93], v[92:93], v[100:101]
	v_pk_fma_f32 v[110:111], v[16:17], s[50:51], v[106:107] op_sel:[1,0,0] neg_lo:[0,0,1] neg_hi:[0,0,1]
	v_pk_fma_f32 v[108:109], v[22:23], s[34:35], v[108:109] op_sel:[1,0,0]
	v_pk_add_f32 v[92:93], v[92:93], v[104:105]
	v_pk_add_f32 v[98:99], v[110:111], v[98:99]
	v_pk_fma_f32 v[110:111], v[24:25], s[44:45], v[112:113] op_sel:[1,0,0]
	v_pk_add_f32 v[92:93], v[108:109], v[92:93]
	s_mov_b32 s34, s27
	s_mov_b32 s35, s23
	;; [unrolled: 1-line block ×4, first 2 shown]
	v_mul_f32_e32 v30, 0x3eb8f4ab, v44
	v_pk_add_f32 v[92:93], v[110:111], v[92:93]
	v_pk_fma_f32 v[96:97], v[10:11], s[20:21], v[102:103] op_sel:[1,0,0]
	v_pk_mul_f32 v[46:47], v[46:47], s[34:35] op_sel_hi:[0,1]
	v_pk_mul_f32 v[44:45], v[44:45], s[36:37] op_sel_hi:[0,1]
	s_mov_b32 s36, s21
	s_mov_b32 s39, s19
	;; [unrolled: 1-line block ×8, first 2 shown]
	v_mul_f32_e32 v58, 0xbf4c4adb, v36
	v_pk_add_f32 v[92:93], v[96:97], v[92:93]
	v_pk_fma_f32 v[96:97], v[16:17], s[50:51], v[106:107] op_sel:[1,0,0]
	s_mov_b32 s34, s24
	s_mov_b32 s35, s0
	;; [unrolled: 1-line block ×3, first 2 shown]
	v_pk_mul_f32 v[36:37], v[36:37], s[14:15] op_sel_hi:[0,1]
	s_mov_b32 s14, s12
	s_mov_b32 s15, s10
	v_pk_mul_f32 v[34:35], v[34:35], s[20:21] op_sel_hi:[0,1]
	v_pk_fma_f32 v[108:109], v[68:69], s[26:27], v[46:47] op_sel:[1,0,0] neg_lo:[0,0,1] neg_hi:[0,0,1]
	v_mul_f32_e32 v48, 0xbf06c442, v40
	v_mul_f32_e32 v60, 0x3ee437d1, v25
	v_pk_add_f32 v[92:93], v[96:97], v[92:93]
	v_pk_fma_f32 v[96:97], v[12:13], s[34:35], v[44:45] op_sel:[1,0,0] neg_lo:[0,0,1] neg_hi:[0,0,1]
	s_mov_b32 s37, s18
	v_pk_mul_f32 v[40:41], v[40:41], s[38:39] op_sel_hi:[0,1]
	s_mov_b32 s40, s23
	v_pk_fma_f32 v[106:107], v[24:25], s[14:15], v[34:35] op_sel:[1,0,0] neg_lo:[0,0,1] neg_hi:[0,0,1]
	v_pk_add_f32 v[108:109], v[6:7], v[108:109] op_sel:[1,0]
	v_pk_fma_f32 v[24:25], v[24:25], s[14:15], v[34:35] op_sel:[1,0,0]
	v_pk_fma_f32 v[34:35], v[68:69], s[26:27], v[46:47] op_sel:[1,0,0]
	v_mul_f32_e32 v28, 0x3f6eb680, v13
	v_mul_f32_e32 v54, 0x3f2c7751, v38
	v_pk_fma_f32 v[100:101], v[14:15], s[36:37], v[40:41] op_sel:[1,0,0] neg_lo:[0,0,1] neg_hi:[0,0,1]
	s_mov_b32 s38, s22
	s_mov_b32 s39, s26
	v_pk_mul_f32 v[38:39], v[38:39], s[40:41] op_sel_hi:[0,1]
	v_pk_add_f32 v[96:97], v[108:109], v[96:97]
	v_pk_fma_f32 v[12:13], v[12:13], s[34:35], v[44:45] op_sel:[1,0,0]
	v_pk_add_f32 v[34:35], v[6:7], v[34:35] op_sel:[1,0]
	v_mul_f32_e32 v42, 0xbf59a7d5, v15
	v_pk_fma_f32 v[102:103], v[20:21], s[38:39], v[38:39] op_sel:[1,0,0] neg_lo:[0,0,1] neg_hi:[0,0,1]
	v_pk_add_f32 v[96:97], v[96:97], v[100:101]
	v_pk_fma_f32 v[14:15], v[14:15], s[36:37], v[40:41] op_sel:[1,0,0]
	v_pk_add_f32 v[12:13], v[34:35], v[12:13]
	v_mul_f32_e32 v52, 0x3f3d2fb0, v21
	v_pk_fma_f32 v[104:105], v[22:23], s[18:19], v[36:37] op_sel:[1,0,0] neg_lo:[0,0,1] neg_hi:[0,0,1]
	v_pk_add_f32 v[96:97], v[96:97], v[102:103]
	s_mov_b32 s28, s11
	v_pk_fma_f32 v[20:21], v[20:21], s[38:39], v[38:39] op_sel:[1,0,0]
	v_pk_add_f32 v[12:13], v[12:13], v[14:15]
	v_mul_f32_e32 v56, 0xbf1a4643, v23
	v_mul_f32_e32 v64, 0xbf763a35, v32
	v_pk_add_f32 v[96:97], v[104:105], v[96:97]
	s_mov_b32 s20, s10
	s_mov_b32 s21, s12
	v_pk_mul_f32 v[32:33], v[32:33], s[28:29] op_sel_hi:[0,1]
	v_pk_fma_f32 v[22:23], v[22:23], s[18:19], v[36:37] op_sel:[1,0,0]
	v_pk_add_f32 v[12:13], v[12:13], v[20:21]
	v_pk_add_f32 v[96:97], v[106:107], v[96:97]
	v_pk_fma_f32 v[100:101], v[10:11], s[20:21], v[32:33] op_sel:[1,0,0] neg_lo:[0,0,1] neg_hi:[0,0,1]
	s_mov_b32 s31, s25
	v_pk_add_f32 v[12:13], v[22:23], v[12:13]
	v_mul_f32_e32 v50, 0xbe8c1d8e, v11
	v_pk_add_f32 v[96:97], v[100:101], v[96:97]
	s_mov_b32 s1, s24
	v_pk_mul_f32 v[100:101], v[18:19], s[30:31] op_sel_hi:[0,1]
	v_pk_add_f32 v[12:13], v[24:25], v[12:13]
	v_pk_fma_f32 v[10:11], v[10:11], s[20:21], v[32:33] op_sel:[1,0,0]
	v_add_f32_e32 v31, v27, v29
	v_pk_add_f32 v[10:11], v[10:11], v[12:13]
	v_pk_fma_f32 v[12:13], v[16:17], s[0:1], v[100:101] op_sel:[1,0,0]
	v_pk_fma_f32 v[102:103], v[16:17], s[0:1], v[100:101] op_sel:[1,0,0] neg_lo:[0,0,1] neg_hi:[0,0,1]
	v_pk_add_f32 v[10:11], v[12:13], v[10:11]
	v_mul_f32_e32 v12, 0x3dbcf732, v17
	v_mul_f32_e32 v14, 0x3f7ee86f, v18
	v_pk_add_f32 v[16:17], v[28:29], v[30:31] neg_lo:[0,1] neg_hi:[0,1]
	v_pk_add_f32 v[18:19], v[28:29], v[30:31]
	v_pk_add_f32 v[20:21], v[42:43], v[48:49]
	v_mov_b32_e32 v17, v18
	v_pk_add_f32 v[18:19], v[42:43], v[48:49] neg_lo:[0,1] neg_hi:[0,1]
	v_pk_add_f32 v[22:23], v[52:53], v[54:55]
	v_mov_b32_e32 v19, v20
	v_pk_add_f32 v[20:21], v[52:53], v[54:55] neg_lo:[0,1] neg_hi:[0,1]
	;; [unrolled: 3-line block ×3, first 2 shown]
	v_mul_f32_e32 v66, 0xbf7ba420, v69
	v_mov_b32_e32 v23, v24
	v_pk_add_f32 v[24:25], v[60:61], v[62:63] neg_lo:[0,1] neg_hi:[0,1]
	v_pk_add_f32 v[28:29], v[60:61], v[62:63]
	v_pk_add_f32 v[96:97], v[102:103], v[96:97]
	v_mov_b32_e32 v25, v28
	v_pk_add_f32 v[28:29], v[66:67], v[26:27] neg_lo:[0,1] neg_hi:[0,1]
	v_pk_add_f32 v[26:27], v[66:67], v[26:27]
	s_nop 0
	v_mov_b32_e32 v29, v26
	v_pk_add_f32 v[6:7], v[6:7], v[28:29] op_sel:[1,0]
	s_nop 0
	v_pk_add_f32 v[6:7], v[6:7], v[16:17]
	v_pk_add_f32 v[16:17], v[50:51], v[64:65] neg_lo:[0,1] neg_hi:[0,1]
	v_pk_add_f32 v[6:7], v[6:7], v[18:19]
	v_pk_add_f32 v[18:19], v[50:51], v[64:65]
	;; [unrolled: 1-line block ×3, first 2 shown]
	v_mov_b32_e32 v17, v18
	v_pk_add_f32 v[6:7], v[22:23], v[6:7]
	s_nop 0
	v_pk_add_f32 v[6:7], v[24:25], v[6:7]
	s_nop 0
	v_pk_add_f32 v[6:7], v[16:17], v[6:7]
	v_pk_add_f32 v[16:17], v[12:13], v[14:15] neg_lo:[0,1] neg_hi:[0,1]
	v_pk_add_f32 v[12:13], v[12:13], v[14:15]
	s_nop 0
	v_mov_b32_e32 v17, v12
	v_lshlrev_b32_e32 v12, 6, v0
	v_add3_u32 v12, v88, v12, v1
	v_pk_add_f32 v[6:7], v[16:17], v[6:7]
	ds_write2_b32 v12, v8, v9 offset1:1
	ds_write2_b32 v12, v94, v95 offset0:2 offset1:3
	ds_write2_b32 v12, v98, v99 offset0:4 offset1:5
	;; [unrolled: 1-line block ×7, first 2 shown]
	ds_write_b32 v12, v31 offset:64
.LBB0_14:
	s_or_b64 exec, exec, s[4:5]
	v_subrev_u32_e32 v9, 17, v0
	v_cmp_gt_u32_e64 s[0:1], 17, v0
	v_add_u32_e32 v14, 0x44, v0
	v_add_u32_e32 v7, 34, v0
	v_cndmask_b32_e64 v16, v9, v0, s[0:1]
	s_movk_i32 s0, 0xf1
	v_mul_lo_u16_sdwa v20, v14, s0 dst_sel:DWORD dst_unused:UNUSED_PAD src0_sel:BYTE_0 src1_sel:DWORD
	v_lshrrev_b16_e32 v44, 12, v20
	v_add_u32_e32 v12, 0x66, v0
	v_mul_lo_u16_sdwa v9, v7, s0 dst_sel:DWORD dst_unused:UNUSED_PAD src0_sel:BYTE_0 src1_sel:DWORD
	v_mul_lo_u16_e32 v20, 17, v44
	v_lshrrev_b16_e32 v9, 12, v9
	v_sub_u16_e32 v45, v14, v20
	v_mul_lo_u16_sdwa v20, v12, s0 dst_sel:DWORD dst_unused:UNUSED_PAD src0_sel:BYTE_0 src1_sel:DWORD
	v_mul_lo_u16_e32 v11, 17, v9
	v_lshrrev_b16_e32 v46, 12, v20
	v_mov_b32_e32 v17, 0
	v_sub_u16_e32 v11, v7, v11
	v_mov_b32_e32 v13, 3
	v_mul_lo_u16_e32 v20, 17, v46
	v_add_u32_e32 v10, 0x88, v0
	v_lshl_add_u64 v[18:19], v[16:17], 3, s[8:9]
	v_lshlrev_b32_sdwa v15, v13, v11 dst_sel:DWORD dst_unused:UNUSED_PAD src0_sel:DWORD src1_sel:BYTE_0
	v_sub_u16_e32 v47, v12, v20
	s_load_dwordx2 s[2:3], s[2:3], 0x0
	v_add_u32_e32 v8, 0xaa, v0
	s_waitcnt lgkmcnt(0)
	s_barrier
	v_lshlrev_b32_sdwa v28, v13, v45 dst_sel:DWORD dst_unused:UNUSED_PAD src0_sel:DWORD src1_sel:BYTE_0
	v_lshlrev_b32_sdwa v29, v13, v47 dst_sel:DWORD dst_unused:UNUSED_PAD src0_sel:DWORD src1_sel:BYTE_0
	global_load_dwordx2 v[20:21], v[18:19], off
	global_load_dwordx2 v[22:23], v15, s[8:9]
	global_load_dwordx2 v[24:25], v28, s[8:9]
	;; [unrolled: 1-line block ×3, first 2 shown]
	v_mul_lo_u16_sdwa v15, v10, s0 dst_sel:DWORD dst_unused:UNUSED_PAD src0_sel:BYTE_0 src1_sel:DWORD
	v_lshrrev_b16_e32 v15, 12, v15
	v_mul_lo_u16_sdwa v19, v8, s0 dst_sel:DWORD dst_unused:UNUSED_PAD src0_sel:BYTE_0 src1_sel:DWORD
	v_mul_lo_u16_e32 v18, 17, v15
	v_lshrrev_b16_e32 v49, 12, v19
	v_add_u32_e32 v6, 0xcc, v0
	v_sub_u16_e32 v48, v10, v18
	v_mul_lo_u16_e32 v19, 17, v49
	v_lshlrev_b32_sdwa v18, v13, v48 dst_sel:DWORD dst_unused:UNUSED_PAD src0_sel:DWORD src1_sel:BYTE_0
	v_sub_u16_e32 v50, v8, v19
	v_mul_lo_u16_sdwa v19, v6, s0 dst_sel:DWORD dst_unused:UNUSED_PAD src0_sel:BYTE_0 src1_sel:DWORD
	v_lshrrev_b16_e32 v51, 12, v19
	global_load_dwordx2 v[18:19], v18, s[8:9]
	v_lshlrev_b32_sdwa v28, v13, v50 dst_sel:DWORD dst_unused:UNUSED_PAD src0_sel:DWORD src1_sel:BYTE_0
	v_mul_lo_u16_e32 v29, 17, v51
	v_sub_u16_e32 v52, v6, v29
	global_load_dwordx2 v[28:29], v28, s[8:9]
	v_lshlrev_b32_sdwa v13, v13, v52 dst_sel:DWORD dst_unused:UNUSED_PAD src0_sel:DWORD src1_sel:BYTE_0
	global_load_dwordx2 v[30:31], v13, s[8:9]
	ds_read2_b32 v[32:33], v85 offset0:110 offset1:144
	ds_read2_b32 v[34:35], v83 offset0:34 offset1:68
	;; [unrolled: 1-line block ×6, first 2 shown]
	ds_read_b32 v13, v82
	ds_read_b32 v53, v83 offset:1768
	v_cmp_lt_u32_e64 s[0:1], 16, v0
	v_lshlrev_b32_e32 v16, 2, v16
	s_movk_i32 s4, 0x88
	s_waitcnt lgkmcnt(0)
	s_barrier
	v_mad_u32_u24 v9, v9, s4, 0
	v_mad_u32_u24 v15, v15, s4, 0
	s_mov_b32 s5, 0x3eae86e6
	s_waitcnt vmcnt(6)
	v_mul_f32_e32 v54, v32, v21
	v_mul_f32_e32 v21, v80, v21
	v_fmac_f32_e32 v54, v80, v20
	v_fma_f32 v20, v32, v20, -v21
	s_waitcnt vmcnt(5)
	v_mul_f32_e32 v21, v33, v23
	v_mul_f32_e32 v23, v81, v23
	s_waitcnt vmcnt(4)
	v_mul_f32_e32 v32, v36, v25
	v_mul_f32_e32 v25, v78, v25
	;; [unrolled: 3-line block ×3, first 2 shown]
	v_fmac_f32_e32 v21, v81, v22
	v_fma_f32 v22, v33, v22, -v23
	v_fmac_f32_e32 v32, v78, v24
	v_fma_f32 v23, v36, v24, -v25
	;; [unrolled: 2-line block ×3, first 2 shown]
	s_waitcnt vmcnt(2)
	v_mul_f32_e32 v56, v40, v19
	v_mul_f32_e32 v19, v76, v19
	v_fmac_f32_e32 v56, v76, v18
	v_fma_f32 v18, v40, v18, -v19
	v_mov_b32_e32 v40, 0x88
	v_cndmask_b32_e64 v40, 0, v40, s[0:1]
	v_sub_f32_e32 v26, v86, v54
	v_add_u32_e32 v40, 0, v40
	v_fma_f32 v27, v86, 2.0, -v26
	v_add3_u32 v16, v40, v16, v1
	ds_write2_b32 v16, v27, v26 offset1:17
	v_mov_b32_e32 v26, 2
	s_waitcnt vmcnt(1)
	v_mul_f32_e32 v57, v41, v29
	v_mul_f32_e32 v29, v77, v29
	v_sub_f32_e32 v21, v74, v21
	v_lshlrev_b32_sdwa v11, v26, v11 dst_sel:DWORD dst_unused:UNUSED_PAD src0_sel:DWORD src1_sel:BYTE_0
	v_fmac_f32_e32 v57, v77, v28
	v_fma_f32 v19, v41, v28, -v29
	v_fma_f32 v28, v74, 2.0, -v21
	v_add3_u32 v9, v9, v11, v1
	ds_write2_b32 v9, v28, v21 offset1:17
	v_mad_u32_u24 v11, v44, s4, 0
	v_lshlrev_b32_sdwa v21, v26, v45 dst_sel:DWORD dst_unused:UNUSED_PAD src0_sel:DWORD src1_sel:BYTE_0
	v_add3_u32 v11, v11, v21, v1
	v_mad_u32_u24 v21, v46, s4, 0
	v_lshlrev_b32_sdwa v27, v26, v47 dst_sel:DWORD dst_unused:UNUSED_PAD src0_sel:DWORD src1_sel:BYTE_0
	s_waitcnt vmcnt(0)
	v_mul_f32_e32 v58, v53, v31
	v_add3_u32 v21, v21, v27, v1
	v_lshlrev_b32_sdwa v27, v26, v48 dst_sel:DWORD dst_unused:UNUSED_PAD src0_sel:DWORD src1_sel:BYTE_0
	v_fmac_f32_e32 v58, v87, v30
	v_mul_f32_e32 v25, v87, v31
	v_sub_f32_e32 v22, v34, v22
	v_sub_f32_e32 v24, v38, v24
	v_add3_u32 v15, v15, v27, v1
	v_mad_u32_u24 v27, v49, s4, 0
	v_lshlrev_b32_sdwa v28, v26, v50 dst_sel:DWORD dst_unused:UNUSED_PAD src0_sel:DWORD src1_sel:BYTE_0
	v_fma_f32 v25, v53, v30, -v25
	v_sub_f32_e32 v20, v13, v20
	v_fma_f32 v29, v34, 2.0, -v22
	v_sub_f32_e32 v30, v75, v32
	v_sub_f32_e32 v23, v35, v23
	;; [unrolled: 1-line block ×3, first 2 shown]
	v_fma_f32 v54, v38, 2.0, -v24
	v_sub_f32_e32 v34, v73, v56
	v_sub_f32_e32 v18, v39, v18
	;; [unrolled: 1-line block ×4, first 2 shown]
	v_add3_u32 v27, v27, v28, v1
	v_mad_u32_u24 v28, v51, s4, 0
	v_lshlrev_b32_sdwa v26, v26, v52 dst_sel:DWORD dst_unused:UNUSED_PAD src0_sel:DWORD src1_sel:BYTE_0
	v_fma_f32 v13, v13, 2.0, -v20
	v_fma_f32 v31, v75, 2.0, -v30
	;; [unrolled: 1-line block ×6, first 2 shown]
	v_sub_f32_e32 v19, v42, v19
	v_fma_f32 v37, v70, 2.0, -v36
	v_sub_f32_e32 v25, v43, v25
	v_fma_f32 v39, v71, 2.0, -v38
	v_add3_u32 v1, v28, v26, v1
	v_fma_f32 v42, v42, 2.0, -v19
	v_fma_f32 v43, v43, 2.0, -v25
	ds_write2_b32 v11, v31, v30 offset1:17
	ds_write2_b32 v21, v33, v32 offset1:17
	;; [unrolled: 1-line block ×5, first 2 shown]
	s_waitcnt lgkmcnt(0)
	s_barrier
	ds_read2_b32 v[30:31], v83 offset0:34 offset1:68
	ds_read2_b32 v[32:33], v83 offset0:102 offset1:136
	;; [unrolled: 1-line block ×6, first 2 shown]
	ds_read_b32 v56, v82
	ds_read_b32 v57, v83 offset:1768
	s_waitcnt lgkmcnt(0)
	s_barrier
	ds_write2_b32 v16, v13, v20 offset1:17
	ds_write2_b32 v9, v29, v22 offset1:17
	;; [unrolled: 1-line block ×7, first 2 shown]
	v_mul_u32_u24_e32 v1, 6, v0
	v_lshlrev_b32_e32 v1, 3, v1
	s_waitcnt lgkmcnt(0)
	s_barrier
	global_load_dwordx4 v[18:21], v1, s[8:9] offset:136
	global_load_dwordx4 v[22:25], v1, s[8:9] offset:152
	;; [unrolled: 1-line block ×3, first 2 shown]
	ds_read2_b32 v[42:43], v83 offset0:34 offset1:68
	ds_read2_b32 v[44:45], v83 offset0:102 offset1:136
	;; [unrolled: 1-line block ×6, first 2 shown]
	ds_read_b32 v1, v82
	ds_read_b32 v9, v83 offset:1768
	s_mov_b32 s0, 0xbf5ff5aa
	s_mov_b32 s1, 0x3f3bfb3b
	;; [unrolled: 1-line block ×3, first 2 shown]
	s_waitcnt lgkmcnt(0)
	s_barrier
	s_waitcnt vmcnt(2)
	v_mul_f32_e32 v15, v45, v21
	v_mul_f32_e32 v11, v43, v19
	v_fmac_f32_e32 v15, v33, v20
	v_mul_f32_e32 v16, v33, v21
	s_waitcnt vmcnt(1)
	v_mul_f32_e32 v33, v35, v23
	v_fmac_f32_e32 v11, v31, v18
	v_mul_f32_e32 v13, v31, v19
	v_mul_f32_e32 v31, v47, v23
	v_fma_f32 v33, v47, v22, -v33
	v_mul_f32_e32 v47, v44, v19
	v_mul_f32_e32 v19, v32, v19
	v_fma_f32 v13, v43, v18, -v13
	v_fmac_f32_e32 v47, v32, v18
	v_fma_f32 v18, v44, v18, -v19
	v_mul_f32_e32 v19, v46, v21
	v_mul_f32_e32 v21, v34, v21
	v_fma_f32 v16, v45, v20, -v16
	v_fmac_f32_e32 v31, v35, v22
	v_mul_f32_e32 v35, v49, v25
	v_fmac_f32_e32 v19, v34, v20
	v_fma_f32 v20, v46, v20, -v21
	v_mul_f32_e32 v21, v48, v23
	v_mul_f32_e32 v23, v36, v23
	v_fmac_f32_e32 v35, v37, v24
	v_mul_f32_e32 v37, v37, v25
	s_waitcnt vmcnt(0)
	v_mul_f32_e32 v43, v51, v27
	v_mul_f32_e32 v45, v53, v29
	v_fmac_f32_e32 v21, v36, v22
	v_fma_f32 v22, v48, v22, -v23
	v_mul_f32_e32 v23, v50, v25
	v_mul_f32_e32 v25, v38, v25
	v_fma_f32 v37, v49, v24, -v37
	v_fmac_f32_e32 v43, v39, v26
	v_mul_f32_e32 v39, v39, v27
	v_fmac_f32_e32 v45, v41, v28
	v_mul_f32_e32 v41, v41, v29
	v_fmac_f32_e32 v23, v38, v24
	v_fma_f32 v24, v50, v24, -v25
	v_mul_f32_e32 v25, v52, v27
	v_mul_f32_e32 v27, v40, v27
	v_fma_f32 v39, v51, v26, -v39
	v_fma_f32 v41, v53, v28, -v41
	v_fmac_f32_e32 v25, v40, v26
	v_fma_f32 v26, v52, v26, -v27
	v_mul_f32_e32 v27, v9, v29
	v_mul_f32_e32 v29, v57, v29
	v_fmac_f32_e32 v27, v57, v28
	v_fma_f32 v9, v9, v28, -v29
	v_add_f32_e32 v28, v11, v45
	v_add_f32_e32 v29, v13, v41
	;; [unrolled: 1-line block ×4, first 2 shown]
	v_sub_f32_e32 v11, v11, v45
	v_sub_f32_e32 v13, v13, v41
	;; [unrolled: 1-line block ×4, first 2 shown]
	v_add_f32_e32 v36, v31, v35
	v_add_f32_e32 v38, v33, v37
	v_sub_f32_e32 v31, v35, v31
	v_sub_f32_e32 v33, v37, v33
	v_add_f32_e32 v35, v32, v28
	v_add_f32_e32 v37, v34, v29
	v_sub_f32_e32 v39, v32, v28
	v_sub_f32_e32 v40, v34, v29
	;; [unrolled: 1-line block ×5, first 2 shown]
	v_add_f32_e32 v41, v31, v15
	v_add_f32_e32 v43, v33, v16
	v_sub_f32_e32 v44, v31, v15
	v_sub_f32_e32 v45, v33, v16
	;; [unrolled: 1-line block ×4, first 2 shown]
	v_add_f32_e32 v35, v36, v35
	v_add_f32_e32 v36, v38, v37
	v_sub_f32_e32 v34, v38, v34
	v_sub_f32_e32 v31, v11, v31
	;; [unrolled: 1-line block ×3, first 2 shown]
	v_add_f32_e32 v13, v43, v13
	v_add_f32_e32 v37, v56, v35
	;; [unrolled: 1-line block ×3, first 2 shown]
	v_mul_f32_e32 v28, 0x3f4a47b2, v28
	v_mul_f32_e32 v29, 0x3f4a47b2, v29
	;; [unrolled: 1-line block ×7, first 2 shown]
	v_add_f32_e32 v11, v41, v11
	v_mul_f32_e32 v41, 0x3d64c772, v34
	v_fmamk_f32 v35, v35, 0xbf955555, v37
	v_fmamk_f32 v36, v36, 0xbf955555, v1
	v_fma_f32 v38, v39, s1, -v38
	v_fma_f32 v39, v39, s4, -v28
	v_fmac_f32_e32 v28, 0x3d64c772, v32
	v_fma_f32 v32, v40, s4, -v29
	v_fma_f32 v15, v15, s0, -v43
	v_fmac_f32_e32 v43, 0xbeae86e6, v31
	v_fma_f32 v16, v16, s0, -v44
	v_fmac_f32_e32 v44, 0xbeae86e6, v33
	v_fma_f32 v31, v31, s5, -v45
	v_fma_f32 v33, v33, s5, -v46
	;; [unrolled: 1-line block ×3, first 2 shown]
	v_fmac_f32_e32 v29, 0x3d64c772, v34
	v_add_f32_e32 v28, v28, v35
	v_add_f32_e32 v34, v38, v35
	;; [unrolled: 1-line block ×4, first 2 shown]
	v_fmac_f32_e32 v16, 0xbee1c552, v13
	v_fmac_f32_e32 v31, 0xbee1c552, v11
	;; [unrolled: 1-line block ×3, first 2 shown]
	v_add_f32_e32 v29, v29, v36
	v_add_f32_e32 v38, v41, v36
	;; [unrolled: 1-line block ×3, first 2 shown]
	v_sub_f32_e32 v39, v32, v31
	v_sub_f32_e32 v40, v34, v16
	v_add_f32_e32 v16, v16, v34
	v_sub_f32_e32 v33, v35, v33
	v_add_f32_e32 v32, v31, v32
	v_add_f32_e32 v31, v47, v27
	;; [unrolled: 1-line block ×3, first 2 shown]
	v_sub_f32_e32 v9, v18, v9
	v_add_f32_e32 v18, v19, v25
	v_add_f32_e32 v35, v20, v26
	v_fmac_f32_e32 v43, 0xbee1c552, v11
	v_fmac_f32_e32 v44, 0xbee1c552, v13
	;; [unrolled: 1-line block ×3, first 2 shown]
	v_sub_f32_e32 v27, v47, v27
	v_sub_f32_e32 v19, v19, v25
	;; [unrolled: 1-line block ×3, first 2 shown]
	v_add_f32_e32 v25, v21, v23
	v_add_f32_e32 v26, v22, v24
	v_sub_f32_e32 v21, v23, v21
	v_sub_f32_e32 v22, v24, v22
	v_add_f32_e32 v23, v18, v31
	v_add_f32_e32 v24, v35, v34
	v_add_f32_e32 v11, v44, v28
	v_sub_f32_e32 v13, v29, v43
	v_add_f32_e32 v41, v15, v38
	v_sub_f32_e32 v15, v38, v15
	v_sub_f32_e32 v28, v28, v44
	v_add_f32_e32 v29, v43, v29
	v_sub_f32_e32 v38, v18, v31
	v_sub_f32_e32 v43, v35, v34
	;; [unrolled: 1-line block ×6, first 2 shown]
	v_add_f32_e32 v44, v21, v19
	v_add_f32_e32 v45, v22, v20
	v_sub_f32_e32 v46, v21, v19
	v_sub_f32_e32 v47, v22, v20
	;; [unrolled: 1-line block ×4, first 2 shown]
	v_add_f32_e32 v23, v25, v23
	v_add_f32_e32 v24, v26, v24
	v_sub_f32_e32 v21, v27, v21
	v_sub_f32_e32 v22, v9, v22
	v_add_f32_e32 v25, v44, v27
	v_add_f32_e32 v9, v45, v9
	;; [unrolled: 1-line block ×4, first 2 shown]
	v_mul_f32_e32 v30, 0x3f4a47b2, v31
	v_mul_f32_e32 v31, 0x3f4a47b2, v34
	;; [unrolled: 1-line block ×8, first 2 shown]
	v_fmamk_f32 v23, v23, 0xbf955555, v26
	v_fmamk_f32 v24, v24, 0xbf955555, v27
	v_fma_f32 v34, v38, s1, -v34
	v_fma_f32 v42, v43, s1, -v42
	;; [unrolled: 1-line block ×3, first 2 shown]
	v_fmac_f32_e32 v30, 0x3d64c772, v18
	v_fma_f32 v18, v43, s4, -v31
	v_fma_f32 v19, v19, s0, -v44
	v_fmac_f32_e32 v44, 0xbeae86e6, v21
	v_fma_f32 v20, v20, s0, -v45
	v_fmac_f32_e32 v45, 0xbeae86e6, v22
	v_fma_f32 v21, v21, s5, -v46
	v_fma_f32 v22, v22, s5, -v47
	v_fmac_f32_e32 v31, 0x3d64c772, v35
	v_add_f32_e32 v30, v30, v23
	v_add_f32_e32 v34, v34, v23
	;; [unrolled: 1-line block ×5, first 2 shown]
	v_fmac_f32_e32 v45, 0xbee1c552, v9
	v_fmac_f32_e32 v19, 0xbee1c552, v25
	;; [unrolled: 1-line block ×5, first 2 shown]
	v_add_f32_e32 v31, v31, v24
	v_fmac_f32_e32 v44, 0xbee1c552, v25
	v_add_f32_e32 v24, v22, v23
	v_sub_f32_e32 v42, v18, v21
	v_sub_f32_e32 v25, v34, v20
	v_add_f32_e32 v43, v19, v35
	v_add_f32_e32 v20, v20, v34
	v_sub_f32_e32 v35, v35, v19
	v_sub_f32_e32 v19, v23, v22
	v_add_f32_e32 v46, v21, v18
	v_sub_f32_e32 v18, v30, v45
	v_add_f32_e32 v9, v45, v30
	;; [unrolled: 2-line block ×3, first 2 shown]
	ds_write2_b32 v83, v37, v11 offset1:34
	ds_write2_b32 v83, v36, v40 offset0:68 offset1:102
	ds_write2_b32 v83, v16, v33 offset0:136 offset1:170
	;; [unrolled: 1-line block ×6, first 2 shown]
	s_waitcnt lgkmcnt(0)
	s_barrier
	ds_read2_b32 v[36:37], v85 offset0:110 offset1:144
	ds_read2_b32 v[30:31], v83 offset0:34 offset1:68
	;; [unrolled: 1-line block ×6, first 2 shown]
	ds_read_b32 v34, v82
	ds_read_b32 v16, v83 offset:1768
	s_waitcnt lgkmcnt(0)
	s_barrier
	ds_write2_b32 v83, v1, v13 offset1:34
	ds_write2_b32 v83, v39, v41 offset0:68 offset1:102
	ds_write2_b32 v83, v15, v32 offset0:136 offset1:170
	;; [unrolled: 1-line block ×6, first 2 shown]
	s_waitcnt lgkmcnt(0)
	s_barrier
	s_and_saveexec_b64 s[0:1], vcc
	s_cbranch_execz .LBB0_16
; %bb.15:
	v_mov_b32_e32 v1, v17
	v_lshl_add_u64 v[26:27], v[0:1], 3, s[8:9]
	global_load_dwordx2 v[38:39], v[26:27], off offset:1768
	global_load_dwordx2 v[40:41], v[26:27], off offset:2040
	v_mul_lo_u32 v1, s3, v4
	v_mul_lo_u32 v9, s2, v5
	v_mad_u64_u32 v[42:43], s[0:1], s2, v4, 0
	ds_read2_b32 v[4:5], v83 offset0:170 offset1:204
	ds_read2_b32 v[32:33], v83 offset0:102 offset1:136
	;; [unrolled: 1-line block ×3, first 2 shown]
	ds_read_b32 v28, v83 offset:1768
	ds_read_b32 v35, v82
	global_load_dwordx2 v[46:47], v[26:27], off offset:2312
	v_add_u32_e32 v11, 0x400, v83
	v_add_u32_e32 v13, 0x200, v83
	ds_read2_b32 v[58:59], v11 offset0:118 offset1:152
	ds_read2_b32 v[60:61], v11 offset0:50 offset1:84
	;; [unrolled: 1-line block ×3, first 2 shown]
	global_load_dwordx2 v[72:73], v[26:27], off offset:2584
	v_mad_u64_u32 v[48:49], s[0:1], s16, v0, 0
	v_add_u32_e32 v15, 0xee, v0
	v_mad_u64_u32 v[50:51], s[2:3], s16, v7, 0
	v_add_u32_e32 v17, 0x110, v0
	s_mov_b32 s1, 0x44d72045
	v_mov_b32_e32 v56, v30
	v_add3_u32 v43, v43, v9, v1
	v_mov_b32_e32 v30, v49
	v_mad_u64_u32 v[64:65], s[2:3], s16, v15, 0
	v_mov_b32_e32 v66, v51
	v_mad_u64_u32 v[68:69], s[2:3], s16, v17, 0
	v_mul_hi_u32 v9, v14, s1
	s_movk_i32 s0, 0xee
	v_mad_u64_u32 v[0:1], s[2:3], s17, v0, v[30:31]
	v_lshl_add_u64 v[42:43], v[42:43], 3, s[6:7]
	v_mov_b32_e32 v30, v65
	v_mad_u64_u32 v[66:67], s[2:3], s17, v7, v[66:67]
	v_mov_b32_e32 v70, v69
	v_lshrrev_b32_e32 v7, 6, v9
	v_mov_b32_e32 v49, v0
	v_lshl_add_u64 v[0:1], v[2:3], 3, v[42:43]
	v_mad_u64_u32 v[2:3], s[2:3], s17, v15, v[30:31]
	v_mad_u64_u32 v[42:43], s[2:3], s17, v17, v[70:71]
	;; [unrolled: 1-line block ×3, first 2 shown]
	v_mov_b32_e32 v69, v42
	v_mad_u64_u32 v[42:43], s[2:3], s16, v14, 0
	v_mov_b32_e32 v30, v43
	v_mov_b32_e32 v51, v66
	;; [unrolled: 1-line block ×3, first 2 shown]
	s_waitcnt lgkmcnt(5)
	v_mov_b32_e32 v57, v44
	s_waitcnt lgkmcnt(0)
	v_mov_b32_e32 v44, v63
	v_mad_u64_u32 v[66:67], s[2:3], s17, v14, v[30:31]
	v_mov_b32_e32 v52, v37
	v_mov_b32_e32 v54, v37
	v_lshl_add_u64 v[2:3], v[50:51], 3, v[0:1]
	v_lshl_add_u64 v[50:51], v[64:65], 3, v[0:1]
	;; [unrolled: 1-line block ×3, first 2 shown]
	v_mov_b32_e32 v43, v66
	v_lshl_add_u64 v[48:49], v[48:49], 3, v[0:1]
	v_add_u32_e32 v7, 0xee, v14
	v_lshl_add_u64 v[42:43], v[42:43], 3, v[0:1]
	s_waitcnt vmcnt(3)
	v_pk_mul_f32 v[62:63], v[62:63], v[38:39] op_sel_hi:[0,1]
	s_waitcnt vmcnt(2)
	v_pk_mul_f32 v[66:67], v[44:45], v[40:41] op_sel_hi:[0,1]
	v_pk_fma_f32 v[68:69], v[36:37], v[38:39], v[62:63] op_sel:[0,0,1] op_sel_hi:[1,1,0]
	v_pk_fma_f32 v[36:37], v[36:37], v[38:39], v[62:63] op_sel:[0,0,1] op_sel_hi:[0,1,0] neg_lo:[1,0,0] neg_hi:[1,0,0]
	v_pk_fma_f32 v[38:39], v[52:53], v[40:41], v[66:67] op_sel:[0,0,1] op_sel_hi:[1,1,0]
	v_pk_fma_f32 v[40:41], v[54:55], v[40:41], v[66:67] op_sel:[0,0,1] op_sel_hi:[0,1,0] neg_lo:[1,0,0] neg_hi:[1,0,0]
	v_mov_b32_e32 v69, v37
	global_load_dwordx2 v[36:37], v[26:27], off offset:2856
	v_mov_b32_e32 v39, v41
	v_pk_add_f32 v[40:41], v[34:35], v[68:69] neg_lo:[0,1] neg_hi:[0,1]
	v_pk_add_f32 v[38:39], v[56:57], v[38:39] neg_lo:[0,1] neg_hi:[0,1]
	v_pk_fma_f32 v[34:35], v[34:35], 2.0, v[40:41] op_sel_hi:[1,0,1] neg_lo:[0,0,1] neg_hi:[0,0,1]
	v_pk_fma_f32 v[52:53], v[56:57], 2.0, v[38:39] op_sel_hi:[1,0,1] neg_lo:[0,0,1] neg_hi:[0,0,1]
	global_store_dwordx2 v[48:49], v[34:35], off
	global_store_dwordx2 v[50:51], v[40:41], off
	;; [unrolled: 1-line block ×4, first 2 shown]
	v_mad_u64_u32 v[2:3], s[2:3], s16, v7, 0
	v_mov_b32_e32 v14, v3
	v_mad_u64_u32 v[14:15], s[2:3], s17, v7, v[14:15]
	v_mov_b32_e32 v3, v14
	s_waitcnt vmcnt(6)
	v_pk_mul_f32 v[14:15], v[60:61], v[46:47] op_sel_hi:[0,1]
	v_pk_fma_f32 v[34:35], v[24:25], v[46:47], v[14:15] op_sel:[0,0,1] op_sel_hi:[1,1,0]
	v_pk_fma_f32 v[14:15], v[24:25], v[46:47], v[14:15] op_sel:[0,0,1] op_sel_hi:[0,1,0] neg_lo:[1,0,0] neg_hi:[1,0,0]
	v_mov_b32_e32 v35, v15
	v_mov_b32_e32 v44, v31
	v_pk_add_f32 v[14:15], v[44:45], v[34:35] neg_lo:[0,1] neg_hi:[0,1]
	v_lshl_add_u64 v[2:3], v[2:3], 3, v[0:1]
	v_pk_fma_f32 v[30:31], v[44:45], 2.0, v[14:15] op_sel_hi:[1,0,1] neg_lo:[0,0,1] neg_hi:[0,0,1]
	global_store_dwordx2 v[42:43], v[30:31], off
	global_store_dwordx2 v[2:3], v[14:15], off
	v_mul_hi_u32 v2, v12, s1
	v_lshrrev_b32_e32 v7, 6, v2
	global_load_dwordx2 v[2:3], v[26:27], off offset:3128
	v_mad_u64_u32 v[12:13], s[2:3], v7, s0, v[12:13]
	v_mad_u64_u32 v[14:15], s[2:3], s16, v12, 0
	v_mov_b32_e32 v24, v15
	v_add_u32_e32 v7, 0xee, v12
	v_mad_u64_u32 v[30:31], s[2:3], s17, v12, v[24:25]
	v_mad_u64_u32 v[12:13], s[2:3], s16, v7, 0
	v_mov_b32_e32 v24, v13
	v_mov_b32_e32 v15, v30
	v_mad_u64_u32 v[30:31], s[2:3], s17, v7, v[24:25]
	v_mov_b32_e32 v24, v61
	v_mov_b32_e32 v13, v30
	s_waitcnt vmcnt(8)
	v_pk_mul_f32 v[30:31], v[24:25], v[72:73] op_sel_hi:[0,1]
	v_mov_b32_e32 v24, v25
	v_pk_fma_f32 v[34:35], v[24:25], v[72:73], v[30:31] op_sel:[0,0,1] op_sel_hi:[1,1,0]
	v_pk_fma_f32 v[24:25], v[24:25], v[72:73], v[30:31] op_sel:[0,0,1] op_sel_hi:[0,1,0] neg_lo:[1,0,0] neg_hi:[1,0,0]
	v_mov_b32_e32 v35, v25
	v_mov_b32_e32 v24, v22
	;; [unrolled: 1-line block ×3, first 2 shown]
	v_pk_add_f32 v[30:31], v[24:25], v[34:35] neg_lo:[0,1] neg_hi:[0,1]
	v_lshl_add_u64 v[14:15], v[14:15], 3, v[0:1]
	v_pk_fma_f32 v[24:25], v[24:25], 2.0, v[30:31] op_sel_hi:[1,0,1] neg_lo:[0,0,1] neg_hi:[0,0,1]
	v_lshl_add_u64 v[12:13], v[12:13], 3, v[0:1]
	global_store_dwordx2 v[14:15], v[24:25], off
	global_store_dwordx2 v[12:13], v[30:31], off
	global_load_dwordx2 v[12:13], v[26:27], off offset:3400
	v_mul_hi_u32 v7, v10, s1
	v_lshrrev_b32_e32 v7, 6, v7
	v_mad_u64_u32 v[10:11], s[2:3], v7, s0, v[10:11]
	v_mad_u64_u32 v[14:15], s[2:3], s16, v10, 0
	v_mov_b32_e32 v22, v15
	v_add_u32_e32 v7, 0xee, v10
	v_mad_u64_u32 v[24:25], s[2:3], s17, v10, v[22:23]
	v_mad_u64_u32 v[10:11], s[2:3], s16, v7, 0
	v_mov_b32_e32 v22, v11
	v_mov_b32_e32 v15, v24
	v_mad_u64_u32 v[24:25], s[2:3], s17, v7, v[22:23]
	v_mov_b32_e32 v11, v24
	v_mov_b32_e32 v32, v23
	v_mul_hi_u32 v7, v8, s1
	v_lshrrev_b32_e32 v7, 6, v7
	v_lshl_add_u64 v[14:15], v[14:15], 3, v[0:1]
	v_lshl_add_u64 v[10:11], v[10:11], 3, v[0:1]
	v_mad_u64_u32 v[8:9], s[2:3], v7, s0, v[8:9]
	v_add_u32_e32 v7, 0xee, v8
	s_waitcnt vmcnt(10)
	v_pk_mul_f32 v[24:25], v[58:59], v[36:37] op_sel_hi:[0,1]
	v_pk_fma_f32 v[26:27], v[20:21], v[36:37], v[24:25] op_sel:[0,0,1] op_sel_hi:[1,1,0]
	v_pk_fma_f32 v[24:25], v[20:21], v[36:37], v[24:25] op_sel:[0,0,1] op_sel_hi:[0,1,0] neg_lo:[1,0,0] neg_hi:[1,0,0]
	v_mov_b32_e32 v27, v25
	v_pk_add_f32 v[22:23], v[32:33], v[26:27] neg_lo:[0,1] neg_hi:[0,1]
	v_mov_b32_e32 v20, v21
	v_pk_fma_f32 v[24:25], v[32:33], 2.0, v[22:23] op_sel_hi:[1,0,1] neg_lo:[0,0,1] neg_hi:[0,0,1]
	global_store_dwordx2 v[14:15], v[24:25], off
	global_store_dwordx2 v[10:11], v[22:23], off
	v_mad_u64_u32 v[10:11], s[2:3], s16, v8, 0
	v_mov_b32_e32 v14, v11
	v_mad_u64_u32 v[14:15], s[2:3], s17, v8, v[14:15]
	v_mad_u64_u32 v[8:9], s[2:3], s16, v7, 0
	v_mov_b32_e32 v11, v14
	v_mov_b32_e32 v14, v9
	v_mad_u64_u32 v[14:15], s[2:3], s17, v7, v[14:15]
	v_mov_b32_e32 v9, v14
	v_mov_b32_e32 v14, v59
	v_lshl_add_u64 v[10:11], v[10:11], 3, v[0:1]
	v_lshl_add_u64 v[8:9], v[8:9], 3, v[0:1]
	s_waitcnt vmcnt(5)
	v_pk_mul_f32 v[14:15], v[14:15], v[2:3] op_sel_hi:[0,1]
	v_pk_fma_f32 v[22:23], v[20:21], v[2:3], v[14:15] op_sel:[0,0,1] op_sel_hi:[1,1,0]
	v_pk_fma_f32 v[2:3], v[20:21], v[2:3], v[14:15] op_sel:[0,0,1] op_sel_hi:[0,1,0] neg_lo:[1,0,0] neg_hi:[1,0,0]
	v_mov_b32_e32 v23, v3
	v_mov_b32_e32 v2, v18
	;; [unrolled: 1-line block ×3, first 2 shown]
	v_pk_add_f32 v[14:15], v[2:3], v[22:23] neg_lo:[0,1] neg_hi:[0,1]
	s_nop 0
	v_pk_fma_f32 v[2:3], v[2:3], 2.0, v[14:15] op_sel_hi:[1,0,1] neg_lo:[0,0,1] neg_hi:[0,0,1]
	global_store_dwordx2 v[10:11], v[2:3], off
	global_store_dwordx2 v[8:9], v[14:15], off
	v_mul_hi_u32 v2, v6, s1
	v_lshrrev_b32_e32 v2, 6, v2
	v_mad_u64_u32 v[2:3], s[0:1], v2, s0, v[6:7]
	v_mad_u64_u32 v[6:7], s[0:1], s16, v2, 0
	v_mov_b32_e32 v4, v7
	v_mad_u64_u32 v[8:9], s[0:1], s17, v2, v[4:5]
	v_mov_b32_e32 v7, v8
	v_add_u32_e32 v8, 0xee, v2
	v_mad_u64_u32 v[2:3], s[0:1], s16, v8, 0
	v_mov_b32_e32 v4, v3
	v_mad_u64_u32 v[8:9], s[0:1], s17, v8, v[4:5]
	v_mov_b32_e32 v3, v8
	v_lshl_add_u64 v[6:7], v[6:7], 3, v[0:1]
	v_lshl_add_u64 v[0:1], v[2:3], 3, v[0:1]
	s_waitcnt vmcnt(4)
	v_pk_mul_f32 v[2:3], v[28:29], v[12:13] op_sel_hi:[0,1]
	v_pk_fma_f32 v[8:9], v[16:17], v[12:13], v[2:3] op_sel:[0,0,1] op_sel_hi:[1,1,0]
	v_pk_fma_f32 v[2:3], v[16:17], v[12:13], v[2:3] op_sel:[0,0,1] op_sel_hi:[0,1,0] neg_lo:[1,0,0] neg_hi:[1,0,0]
	v_mov_b32_e32 v9, v3
	v_mov_b32_e32 v4, v19
	v_pk_add_f32 v[2:3], v[4:5], v[8:9] neg_lo:[0,1] neg_hi:[0,1]
	s_nop 0
	v_pk_fma_f32 v[4:5], v[4:5], 2.0, v[2:3] op_sel_hi:[1,0,1] neg_lo:[0,0,1] neg_hi:[0,0,1]
	global_store_dwordx2 v[6:7], v[4:5], off
	global_store_dwordx2 v[0:1], v[2:3], off
.LBB0_16:
	s_endpgm
	.section	.rodata,"a",@progbits
	.p2align	6, 0x0
	.amdhsa_kernel fft_rtc_back_len476_factors_17_2_7_2_wgs_102_tpt_34_halfLds_sp_op_CI_CI_sbrr_dirReg
		.amdhsa_group_segment_fixed_size 0
		.amdhsa_private_segment_fixed_size 0
		.amdhsa_kernarg_size 104
		.amdhsa_user_sgpr_count 2
		.amdhsa_user_sgpr_dispatch_ptr 0
		.amdhsa_user_sgpr_queue_ptr 0
		.amdhsa_user_sgpr_kernarg_segment_ptr 1
		.amdhsa_user_sgpr_dispatch_id 0
		.amdhsa_user_sgpr_kernarg_preload_length 0
		.amdhsa_user_sgpr_kernarg_preload_offset 0
		.amdhsa_user_sgpr_private_segment_size 0
		.amdhsa_uses_dynamic_stack 0
		.amdhsa_enable_private_segment 0
		.amdhsa_system_sgpr_workgroup_id_x 1
		.amdhsa_system_sgpr_workgroup_id_y 0
		.amdhsa_system_sgpr_workgroup_id_z 0
		.amdhsa_system_sgpr_workgroup_info 0
		.amdhsa_system_vgpr_workitem_id 0
		.amdhsa_next_free_vgpr 156
		.amdhsa_next_free_sgpr 70
		.amdhsa_accum_offset 156
		.amdhsa_reserve_vcc 1
		.amdhsa_float_round_mode_32 0
		.amdhsa_float_round_mode_16_64 0
		.amdhsa_float_denorm_mode_32 3
		.amdhsa_float_denorm_mode_16_64 3
		.amdhsa_dx10_clamp 1
		.amdhsa_ieee_mode 1
		.amdhsa_fp16_overflow 0
		.amdhsa_tg_split 0
		.amdhsa_exception_fp_ieee_invalid_op 0
		.amdhsa_exception_fp_denorm_src 0
		.amdhsa_exception_fp_ieee_div_zero 0
		.amdhsa_exception_fp_ieee_overflow 0
		.amdhsa_exception_fp_ieee_underflow 0
		.amdhsa_exception_fp_ieee_inexact 0
		.amdhsa_exception_int_div_zero 0
	.end_amdhsa_kernel
	.text
.Lfunc_end0:
	.size	fft_rtc_back_len476_factors_17_2_7_2_wgs_102_tpt_34_halfLds_sp_op_CI_CI_sbrr_dirReg, .Lfunc_end0-fft_rtc_back_len476_factors_17_2_7_2_wgs_102_tpt_34_halfLds_sp_op_CI_CI_sbrr_dirReg
                                        ; -- End function
	.section	.AMDGPU.csdata,"",@progbits
; Kernel info:
; codeLenInByte = 11128
; NumSgprs: 76
; NumVgprs: 156
; NumAgprs: 0
; TotalNumVgprs: 156
; ScratchSize: 0
; MemoryBound: 0
; FloatMode: 240
; IeeeMode: 1
; LDSByteSize: 0 bytes/workgroup (compile time only)
; SGPRBlocks: 9
; VGPRBlocks: 19
; NumSGPRsForWavesPerEU: 76
; NumVGPRsForWavesPerEU: 156
; AccumOffset: 156
; Occupancy: 3
; WaveLimiterHint : 1
; COMPUTE_PGM_RSRC2:SCRATCH_EN: 0
; COMPUTE_PGM_RSRC2:USER_SGPR: 2
; COMPUTE_PGM_RSRC2:TRAP_HANDLER: 0
; COMPUTE_PGM_RSRC2:TGID_X_EN: 1
; COMPUTE_PGM_RSRC2:TGID_Y_EN: 0
; COMPUTE_PGM_RSRC2:TGID_Z_EN: 0
; COMPUTE_PGM_RSRC2:TIDIG_COMP_CNT: 0
; COMPUTE_PGM_RSRC3_GFX90A:ACCUM_OFFSET: 38
; COMPUTE_PGM_RSRC3_GFX90A:TG_SPLIT: 0
	.text
	.p2alignl 6, 3212836864
	.fill 256, 4, 3212836864
	.type	__hip_cuid_ae5f4bff21c7c12f,@object ; @__hip_cuid_ae5f4bff21c7c12f
	.section	.bss,"aw",@nobits
	.globl	__hip_cuid_ae5f4bff21c7c12f
__hip_cuid_ae5f4bff21c7c12f:
	.byte	0                               ; 0x0
	.size	__hip_cuid_ae5f4bff21c7c12f, 1

	.ident	"AMD clang version 19.0.0git (https://github.com/RadeonOpenCompute/llvm-project roc-6.4.0 25133 c7fe45cf4b819c5991fe208aaa96edf142730f1d)"
	.section	".note.GNU-stack","",@progbits
	.addrsig
	.addrsig_sym __hip_cuid_ae5f4bff21c7c12f
	.amdgpu_metadata
---
amdhsa.kernels:
  - .agpr_count:     0
    .args:
      - .actual_access:  read_only
        .address_space:  global
        .offset:         0
        .size:           8
        .value_kind:     global_buffer
      - .offset:         8
        .size:           8
        .value_kind:     by_value
      - .actual_access:  read_only
        .address_space:  global
        .offset:         16
        .size:           8
        .value_kind:     global_buffer
      - .actual_access:  read_only
        .address_space:  global
        .offset:         24
        .size:           8
        .value_kind:     global_buffer
      - .actual_access:  read_only
        .address_space:  global
        .offset:         32
        .size:           8
        .value_kind:     global_buffer
      - .offset:         40
        .size:           8
        .value_kind:     by_value
      - .actual_access:  read_only
        .address_space:  global
        .offset:         48
        .size:           8
        .value_kind:     global_buffer
      - .actual_access:  read_only
        .address_space:  global
        .offset:         56
        .size:           8
        .value_kind:     global_buffer
      - .offset:         64
        .size:           4
        .value_kind:     by_value
      - .actual_access:  read_only
        .address_space:  global
        .offset:         72
        .size:           8
        .value_kind:     global_buffer
      - .actual_access:  read_only
        .address_space:  global
        .offset:         80
        .size:           8
        .value_kind:     global_buffer
      - .actual_access:  read_only
        .address_space:  global
        .offset:         88
        .size:           8
        .value_kind:     global_buffer
      - .actual_access:  write_only
        .address_space:  global
        .offset:         96
        .size:           8
        .value_kind:     global_buffer
    .group_segment_fixed_size: 0
    .kernarg_segment_align: 8
    .kernarg_segment_size: 104
    .language:       OpenCL C
    .language_version:
      - 2
      - 0
    .max_flat_workgroup_size: 102
    .name:           fft_rtc_back_len476_factors_17_2_7_2_wgs_102_tpt_34_halfLds_sp_op_CI_CI_sbrr_dirReg
    .private_segment_fixed_size: 0
    .sgpr_count:     76
    .sgpr_spill_count: 0
    .symbol:         fft_rtc_back_len476_factors_17_2_7_2_wgs_102_tpt_34_halfLds_sp_op_CI_CI_sbrr_dirReg.kd
    .uniform_work_group_size: 1
    .uses_dynamic_stack: false
    .vgpr_count:     156
    .vgpr_spill_count: 0
    .wavefront_size: 64
amdhsa.target:   amdgcn-amd-amdhsa--gfx950
amdhsa.version:
  - 1
  - 2
...

	.end_amdgpu_metadata
